;; amdgpu-corpus repo=ROCm/rocFFT kind=compiled arch=gfx1201 opt=O3
	.text
	.amdgcn_target "amdgcn-amd-amdhsa--gfx1201"
	.amdhsa_code_object_version 6
	.protected	fft_rtc_back_len1960_factors_4_7_2_7_5_wgs_56_tpt_56_halfLds_half_op_CI_CI_unitstride_sbrr_dirReg ; -- Begin function fft_rtc_back_len1960_factors_4_7_2_7_5_wgs_56_tpt_56_halfLds_half_op_CI_CI_unitstride_sbrr_dirReg
	.globl	fft_rtc_back_len1960_factors_4_7_2_7_5_wgs_56_tpt_56_halfLds_half_op_CI_CI_unitstride_sbrr_dirReg
	.p2align	8
	.type	fft_rtc_back_len1960_factors_4_7_2_7_5_wgs_56_tpt_56_halfLds_half_op_CI_CI_unitstride_sbrr_dirReg,@function
fft_rtc_back_len1960_factors_4_7_2_7_5_wgs_56_tpt_56_halfLds_half_op_CI_CI_unitstride_sbrr_dirReg: ; @fft_rtc_back_len1960_factors_4_7_2_7_5_wgs_56_tpt_56_halfLds_half_op_CI_CI_unitstride_sbrr_dirReg
; %bb.0:
	s_clause 0x2
	s_load_b128 s[8:11], s[0:1], 0x0
	s_load_b128 s[4:7], s[0:1], 0x58
	;; [unrolled: 1-line block ×3, first 2 shown]
	v_mul_u32_u24_e32 v1, 0x493, v0
	v_mov_b32_e32 v8, 0
	s_delay_alu instid0(VALU_DEP_2) | instskip(NEXT) | instid1(VALU_DEP_1)
	v_lshrrev_b32_e32 v1, 16, v1
	v_dual_mov_b32 v1, 0 :: v_dual_add_nc_u32 v10, ttmp9, v1
	s_delay_alu instid0(VALU_DEP_3) | instskip(SKIP_2) | instid1(VALU_DEP_1)
	v_dual_mov_b32 v11, v8 :: v_dual_mov_b32 v2, 0
	s_wait_kmcnt 0x0
	v_cmp_lt_u64_e64 s2, s[10:11], 2
	s_and_b32 vcc_lo, exec_lo, s2
	s_cbranch_vccnz .LBB0_8
; %bb.1:
	s_load_b64 s[2:3], s[0:1], 0x10
	v_mov_b32_e32 v1, 0
	v_mov_b32_e32 v2, 0
	s_add_nc_u64 s[16:17], s[14:15], 8
	s_add_nc_u64 s[18:19], s[12:13], 8
	s_mov_b64 s[20:21], 1
	s_delay_alu instid0(VALU_DEP_1)
	v_dual_mov_b32 v5, v2 :: v_dual_mov_b32 v4, v1
	s_wait_kmcnt 0x0
	s_add_nc_u64 s[22:23], s[2:3], 8
	s_mov_b32 s3, 0
.LBB0_2:                                ; =>This Inner Loop Header: Depth=1
	s_load_b64 s[24:25], s[22:23], 0x0
                                        ; implicit-def: $vgpr6_vgpr7
	s_mov_b32 s2, exec_lo
	s_wait_kmcnt 0x0
	v_or_b32_e32 v9, s25, v11
	s_delay_alu instid0(VALU_DEP_1)
	v_cmpx_ne_u64_e32 0, v[8:9]
	s_wait_alu 0xfffe
	s_xor_b32 s26, exec_lo, s2
	s_cbranch_execz .LBB0_4
; %bb.3:                                ;   in Loop: Header=BB0_2 Depth=1
	s_cvt_f32_u32 s2, s24
	s_cvt_f32_u32 s27, s25
	s_sub_nc_u64 s[30:31], 0, s[24:25]
	s_wait_alu 0xfffe
	s_delay_alu instid0(SALU_CYCLE_1) | instskip(SKIP_1) | instid1(SALU_CYCLE_2)
	s_fmamk_f32 s2, s27, 0x4f800000, s2
	s_wait_alu 0xfffe
	v_s_rcp_f32 s2, s2
	s_delay_alu instid0(TRANS32_DEP_1) | instskip(SKIP_1) | instid1(SALU_CYCLE_2)
	s_mul_f32 s2, s2, 0x5f7ffffc
	s_wait_alu 0xfffe
	s_mul_f32 s27, s2, 0x2f800000
	s_wait_alu 0xfffe
	s_delay_alu instid0(SALU_CYCLE_2) | instskip(SKIP_1) | instid1(SALU_CYCLE_2)
	s_trunc_f32 s27, s27
	s_wait_alu 0xfffe
	s_fmamk_f32 s2, s27, 0xcf800000, s2
	s_cvt_u32_f32 s29, s27
	s_wait_alu 0xfffe
	s_delay_alu instid0(SALU_CYCLE_1) | instskip(SKIP_1) | instid1(SALU_CYCLE_2)
	s_cvt_u32_f32 s28, s2
	s_wait_alu 0xfffe
	s_mul_u64 s[34:35], s[30:31], s[28:29]
	s_wait_alu 0xfffe
	s_mul_hi_u32 s37, s28, s35
	s_mul_i32 s36, s28, s35
	s_mul_hi_u32 s2, s28, s34
	s_mul_i32 s33, s29, s34
	s_wait_alu 0xfffe
	s_add_nc_u64 s[36:37], s[2:3], s[36:37]
	s_mul_hi_u32 s27, s29, s34
	s_mul_hi_u32 s38, s29, s35
	s_add_co_u32 s2, s36, s33
	s_wait_alu 0xfffe
	s_add_co_ci_u32 s2, s37, s27
	s_mul_i32 s34, s29, s35
	s_add_co_ci_u32 s35, s38, 0
	s_wait_alu 0xfffe
	s_add_nc_u64 s[34:35], s[2:3], s[34:35]
	s_wait_alu 0xfffe
	v_add_co_u32 v3, s2, s28, s34
	s_delay_alu instid0(VALU_DEP_1) | instskip(SKIP_1) | instid1(VALU_DEP_1)
	s_cmp_lg_u32 s2, 0
	s_add_co_ci_u32 s29, s29, s35
	v_readfirstlane_b32 s28, v3
	s_wait_alu 0xfffe
	s_delay_alu instid0(VALU_DEP_1)
	s_mul_u64 s[30:31], s[30:31], s[28:29]
	s_wait_alu 0xfffe
	s_mul_hi_u32 s35, s28, s31
	s_mul_i32 s34, s28, s31
	s_mul_hi_u32 s2, s28, s30
	s_mul_i32 s33, s29, s30
	s_wait_alu 0xfffe
	s_add_nc_u64 s[34:35], s[2:3], s[34:35]
	s_mul_hi_u32 s27, s29, s30
	s_mul_hi_u32 s28, s29, s31
	s_wait_alu 0xfffe
	s_add_co_u32 s2, s34, s33
	s_add_co_ci_u32 s2, s35, s27
	s_mul_i32 s30, s29, s31
	s_add_co_ci_u32 s31, s28, 0
	s_wait_alu 0xfffe
	s_add_nc_u64 s[30:31], s[2:3], s[30:31]
	s_wait_alu 0xfffe
	v_add_co_u32 v3, s2, v3, s30
	s_delay_alu instid0(VALU_DEP_1) | instskip(SKIP_1) | instid1(VALU_DEP_1)
	s_cmp_lg_u32 s2, 0
	s_add_co_ci_u32 s2, s29, s31
	v_mul_hi_u32 v9, v10, v3
	s_wait_alu 0xfffe
	v_mad_co_u64_u32 v[6:7], null, v10, s2, 0
	v_mad_co_u64_u32 v[12:13], null, v11, v3, 0
	;; [unrolled: 1-line block ×3, first 2 shown]
	s_delay_alu instid0(VALU_DEP_3) | instskip(SKIP_1) | instid1(VALU_DEP_4)
	v_add_co_u32 v3, vcc_lo, v9, v6
	s_wait_alu 0xfffd
	v_add_co_ci_u32_e32 v6, vcc_lo, 0, v7, vcc_lo
	s_delay_alu instid0(VALU_DEP_2) | instskip(SKIP_1) | instid1(VALU_DEP_2)
	v_add_co_u32 v3, vcc_lo, v3, v12
	s_wait_alu 0xfffd
	v_add_co_ci_u32_e32 v3, vcc_lo, v6, v13, vcc_lo
	s_wait_alu 0xfffd
	v_add_co_ci_u32_e32 v6, vcc_lo, 0, v15, vcc_lo
	s_delay_alu instid0(VALU_DEP_2) | instskip(SKIP_1) | instid1(VALU_DEP_2)
	v_add_co_u32 v3, vcc_lo, v3, v14
	s_wait_alu 0xfffd
	v_add_co_ci_u32_e32 v9, vcc_lo, 0, v6, vcc_lo
	s_delay_alu instid0(VALU_DEP_2) | instskip(SKIP_1) | instid1(VALU_DEP_3)
	v_mul_lo_u32 v12, s25, v3
	v_mad_co_u64_u32 v[6:7], null, s24, v3, 0
	v_mul_lo_u32 v13, s24, v9
	s_delay_alu instid0(VALU_DEP_2) | instskip(NEXT) | instid1(VALU_DEP_2)
	v_sub_co_u32 v6, vcc_lo, v10, v6
	v_add3_u32 v7, v7, v13, v12
	s_delay_alu instid0(VALU_DEP_1) | instskip(SKIP_1) | instid1(VALU_DEP_1)
	v_sub_nc_u32_e32 v12, v11, v7
	s_wait_alu 0xfffd
	v_subrev_co_ci_u32_e64 v12, s2, s25, v12, vcc_lo
	v_add_co_u32 v13, s2, v3, 2
	s_wait_alu 0xf1ff
	v_add_co_ci_u32_e64 v14, s2, 0, v9, s2
	v_sub_co_u32 v15, s2, v6, s24
	v_sub_co_ci_u32_e32 v7, vcc_lo, v11, v7, vcc_lo
	s_wait_alu 0xf1ff
	v_subrev_co_ci_u32_e64 v12, s2, 0, v12, s2
	s_delay_alu instid0(VALU_DEP_3) | instskip(NEXT) | instid1(VALU_DEP_3)
	v_cmp_le_u32_e32 vcc_lo, s24, v15
	v_cmp_eq_u32_e64 s2, s25, v7
	s_wait_alu 0xfffd
	v_cndmask_b32_e64 v15, 0, -1, vcc_lo
	v_cmp_le_u32_e32 vcc_lo, s25, v12
	s_wait_alu 0xfffd
	v_cndmask_b32_e64 v16, 0, -1, vcc_lo
	v_cmp_le_u32_e32 vcc_lo, s24, v6
	;; [unrolled: 3-line block ×3, first 2 shown]
	s_wait_alu 0xfffd
	v_cndmask_b32_e64 v17, 0, -1, vcc_lo
	v_cmp_eq_u32_e32 vcc_lo, s25, v12
	s_wait_alu 0xf1ff
	s_delay_alu instid0(VALU_DEP_2)
	v_cndmask_b32_e64 v6, v17, v6, s2
	s_wait_alu 0xfffd
	v_cndmask_b32_e32 v12, v16, v15, vcc_lo
	v_add_co_u32 v15, vcc_lo, v3, 1
	s_wait_alu 0xfffd
	v_add_co_ci_u32_e32 v16, vcc_lo, 0, v9, vcc_lo
	s_delay_alu instid0(VALU_DEP_3) | instskip(SKIP_1) | instid1(VALU_DEP_2)
	v_cmp_ne_u32_e32 vcc_lo, 0, v12
	s_wait_alu 0xfffd
	v_dual_cndmask_b32 v7, v16, v14 :: v_dual_cndmask_b32 v12, v15, v13
	v_cmp_ne_u32_e32 vcc_lo, 0, v6
	s_wait_alu 0xfffd
	s_delay_alu instid0(VALU_DEP_2)
	v_dual_cndmask_b32 v7, v9, v7 :: v_dual_cndmask_b32 v6, v3, v12
.LBB0_4:                                ;   in Loop: Header=BB0_2 Depth=1
	s_wait_alu 0xfffe
	s_and_not1_saveexec_b32 s2, s26
	s_cbranch_execz .LBB0_6
; %bb.5:                                ;   in Loop: Header=BB0_2 Depth=1
	v_cvt_f32_u32_e32 v3, s24
	s_sub_co_i32 s26, 0, s24
	s_delay_alu instid0(VALU_DEP_1) | instskip(NEXT) | instid1(TRANS32_DEP_1)
	v_rcp_iflag_f32_e32 v3, v3
	v_mul_f32_e32 v3, 0x4f7ffffe, v3
	s_delay_alu instid0(VALU_DEP_1) | instskip(SKIP_1) | instid1(VALU_DEP_1)
	v_cvt_u32_f32_e32 v3, v3
	s_wait_alu 0xfffe
	v_mul_lo_u32 v6, s26, v3
	s_delay_alu instid0(VALU_DEP_1) | instskip(NEXT) | instid1(VALU_DEP_1)
	v_mul_hi_u32 v6, v3, v6
	v_add_nc_u32_e32 v3, v3, v6
	s_delay_alu instid0(VALU_DEP_1) | instskip(NEXT) | instid1(VALU_DEP_1)
	v_mul_hi_u32 v3, v10, v3
	v_mul_lo_u32 v6, v3, s24
	v_add_nc_u32_e32 v7, 1, v3
	s_delay_alu instid0(VALU_DEP_2) | instskip(NEXT) | instid1(VALU_DEP_1)
	v_sub_nc_u32_e32 v6, v10, v6
	v_subrev_nc_u32_e32 v9, s24, v6
	v_cmp_le_u32_e32 vcc_lo, s24, v6
	s_wait_alu 0xfffd
	s_delay_alu instid0(VALU_DEP_2) | instskip(NEXT) | instid1(VALU_DEP_1)
	v_dual_cndmask_b32 v6, v6, v9 :: v_dual_cndmask_b32 v3, v3, v7
	v_cmp_le_u32_e32 vcc_lo, s24, v6
	s_delay_alu instid0(VALU_DEP_2) | instskip(SKIP_1) | instid1(VALU_DEP_1)
	v_add_nc_u32_e32 v7, 1, v3
	s_wait_alu 0xfffd
	v_dual_cndmask_b32 v6, v3, v7 :: v_dual_mov_b32 v7, v8
.LBB0_6:                                ;   in Loop: Header=BB0_2 Depth=1
	s_wait_alu 0xfffe
	s_or_b32 exec_lo, exec_lo, s2
	s_delay_alu instid0(VALU_DEP_1) | instskip(NEXT) | instid1(VALU_DEP_2)
	v_mul_lo_u32 v3, v7, s24
	v_mul_lo_u32 v9, v6, s25
	s_load_b64 s[26:27], s[18:19], 0x0
	v_mad_co_u64_u32 v[12:13], null, v6, s24, 0
	s_load_b64 s[24:25], s[16:17], 0x0
	s_add_nc_u64 s[20:21], s[20:21], 1
	s_add_nc_u64 s[16:17], s[16:17], 8
	s_wait_alu 0xfffe
	v_cmp_ge_u64_e64 s2, s[20:21], s[10:11]
	s_add_nc_u64 s[18:19], s[18:19], 8
	s_add_nc_u64 s[22:23], s[22:23], 8
	v_add3_u32 v3, v13, v9, v3
	v_sub_co_u32 v9, vcc_lo, v10, v12
	s_wait_alu 0xfffd
	s_delay_alu instid0(VALU_DEP_2) | instskip(SKIP_2) | instid1(VALU_DEP_1)
	v_sub_co_ci_u32_e32 v3, vcc_lo, v11, v3, vcc_lo
	s_and_b32 vcc_lo, exec_lo, s2
	s_wait_kmcnt 0x0
	v_mul_lo_u32 v10, s26, v3
	v_mul_lo_u32 v11, s27, v9
	v_mad_co_u64_u32 v[1:2], null, s26, v9, v[1:2]
	v_mul_lo_u32 v3, s24, v3
	v_mul_lo_u32 v12, s25, v9
	v_mad_co_u64_u32 v[4:5], null, s24, v9, v[4:5]
	s_delay_alu instid0(VALU_DEP_4) | instskip(NEXT) | instid1(VALU_DEP_2)
	v_add3_u32 v2, v11, v2, v10
	v_add3_u32 v5, v12, v5, v3
	s_wait_alu 0xfffe
	s_cbranch_vccnz .LBB0_9
; %bb.7:                                ;   in Loop: Header=BB0_2 Depth=1
	v_dual_mov_b32 v11, v7 :: v_dual_mov_b32 v10, v6
	s_branch .LBB0_2
.LBB0_8:
	v_dual_mov_b32 v5, v2 :: v_dual_mov_b32 v4, v1
	v_dual_mov_b32 v6, v10 :: v_dual_mov_b32 v7, v11
.LBB0_9:
	s_load_b64 s[0:1], s[0:1], 0x28
	v_mul_hi_u32 v81, 0x4924925, v0
	s_lshl_b64 s[10:11], s[10:11], 3
                                        ; implicit-def: $vgpr10
                                        ; implicit-def: $vgpr19
	s_wait_alu 0xfffe
	s_add_nc_u64 s[2:3], s[14:15], s[10:11]
                                        ; implicit-def: $sgpr14
	s_wait_kmcnt 0x0
	v_cmp_gt_u64_e32 vcc_lo, s[0:1], v[6:7]
	v_cmp_le_u64_e64 s0, s[0:1], v[6:7]
	s_delay_alu instid0(VALU_DEP_1)
	s_and_saveexec_b32 s1, s0
	s_wait_alu 0xfffe
	s_xor_b32 s0, exec_lo, s1
; %bb.10:
	v_mul_u32_u24_e32 v1, 56, v81
	s_mov_b32 s14, 0
                                        ; implicit-def: $vgpr81
	s_delay_alu instid0(VALU_DEP_1) | instskip(NEXT) | instid1(VALU_DEP_1)
	v_sub_nc_u32_e32 v10, v0, v1
                                        ; implicit-def: $vgpr0
                                        ; implicit-def: $vgpr1_vgpr2
	v_or_b32_e32 v19, 0x1c0, v10
; %bb.11:
	s_wait_alu 0xfffe
	s_or_saveexec_b32 s1, s0
	s_load_b64 s[2:3], s[2:3], 0x0
	v_dual_mov_b32 v3, s14 :: v_dual_mov_b32 v20, s14
	v_dual_mov_b32 v8, s14 :: v_dual_mov_b32 v11, s14
                                        ; implicit-def: $vgpr22
                                        ; implicit-def: $vgpr16
                                        ; implicit-def: $vgpr23
                                        ; implicit-def: $vgpr56
                                        ; implicit-def: $vgpr26
                                        ; implicit-def: $vgpr68
                                        ; implicit-def: $vgpr73
                                        ; implicit-def: $vgpr71
                                        ; implicit-def: $vgpr24
                                        ; implicit-def: $vgpr21
                                        ; implicit-def: $vgpr27
                                        ; implicit-def: $vgpr54
                                        ; implicit-def: $vgpr29
                                        ; implicit-def: $vgpr69
                                        ; implicit-def: $vgpr74
                                        ; implicit-def: $vgpr72
                                        ; implicit-def: $vgpr25
                                        ; implicit-def: $vgpr47
                                        ; implicit-def: $vgpr30
                                        ; implicit-def: $vgpr55
                                        ; implicit-def: $vgpr36
                                        ; implicit-def: $vgpr67
                                        ; implicit-def: $vgpr78
                                        ; implicit-def: $vgpr70
                                        ; implicit-def: $vgpr28
                                        ; implicit-def: $vgpr17
                                        ; implicit-def: $vgpr31
                                        ; implicit-def: $vgpr51
                                        ; implicit-def: $vgpr39
                                        ; implicit-def: $vgpr62
                                        ; implicit-def: $vgpr75
                                        ; implicit-def: $vgpr66
                                        ; implicit-def: $vgpr32
                                        ; implicit-def: $vgpr15
                                        ; implicit-def: $vgpr34
                                        ; implicit-def: $vgpr49
                                        ; implicit-def: $vgpr40
                                        ; implicit-def: $vgpr59
                                        ; implicit-def: $vgpr77
                                        ; implicit-def: $vgpr64
                                        ; implicit-def: $vgpr35
                                        ; implicit-def: $vgpr14
                                        ; implicit-def: $vgpr38
                                        ; implicit-def: $vgpr48
                                        ; implicit-def: $vgpr42
                                        ; implicit-def: $vgpr57
                                        ; implicit-def: $vgpr76
                                        ; implicit-def: $vgpr63
                                        ; implicit-def: $vgpr33
                                        ; implicit-def: $vgpr13
                                        ; implicit-def: $vgpr37
                                        ; implicit-def: $vgpr46
                                        ; implicit-def: $vgpr44
                                        ; implicit-def: $vgpr52
                                        ; implicit-def: $vgpr79
                                        ; implicit-def: $vgpr58
                                        ; implicit-def: $vgpr41
                                        ; implicit-def: $vgpr12
                                        ; implicit-def: $vgpr43
                                        ; implicit-def: $vgpr18
                                        ; implicit-def: $vgpr45
                                        ; implicit-def: $vgpr50
                                        ; implicit-def: $vgpr80
                                        ; implicit-def: $vgpr53
                                        ; implicit-def: $vgpr9
                                        ; implicit-def: $vgpr61
                                        ; implicit-def: $vgpr65
                                        ; implicit-def: $vgpr60
	s_xor_b32 exec_lo, exec_lo, s1
	s_cbranch_execz .LBB0_15
; %bb.12:
	s_add_nc_u64 s[10:11], s[12:13], s[10:11]
	v_lshlrev_b64_e32 v[1:2], 2, v[1:2]
	s_load_b64 s[10:11], s[10:11], 0x0
	v_mov_b32_e32 v20, 0
                                        ; implicit-def: $vgpr60
                                        ; implicit-def: $vgpr65
                                        ; implicit-def: $vgpr61
	v_mov_b32_e32 v11, 0
	s_wait_kmcnt 0x0
	v_mul_lo_u32 v3, s11, v6
	v_mul_lo_u32 v10, s10, v7
	v_mad_co_u64_u32 v[8:9], null, s10, v6, 0
	s_delay_alu instid0(VALU_DEP_1) | instskip(SKIP_1) | instid1(VALU_DEP_2)
	v_add3_u32 v9, v9, v10, v3
	v_mul_u32_u24_e32 v3, 56, v81
	v_lshlrev_b64_e32 v[8:9], 2, v[8:9]
	s_delay_alu instid0(VALU_DEP_2) | instskip(NEXT) | instid1(VALU_DEP_2)
	v_sub_nc_u32_e32 v10, v0, v3
	v_add_co_u32 v0, s0, s4, v8
	s_wait_alu 0xf1ff
	s_delay_alu instid0(VALU_DEP_3) | instskip(NEXT) | instid1(VALU_DEP_3)
	v_add_co_ci_u32_e64 v3, s0, s5, v9, s0
	v_lshlrev_b32_e32 v8, 2, v10
	s_delay_alu instid0(VALU_DEP_3) | instskip(SKIP_1) | instid1(VALU_DEP_3)
	v_add_co_u32 v0, s0, v0, v1
	s_wait_alu 0xf1ff
	v_add_co_ci_u32_e64 v1, s0, v3, v2, s0
	v_or_b32_e32 v19, 0x1c0, v10
	s_delay_alu instid0(VALU_DEP_3) | instskip(SKIP_1) | instid1(VALU_DEP_3)
	v_add_co_u32 v0, s0, v0, v8
	s_wait_alu 0xf1ff
	v_add_co_ci_u32_e64 v1, s0, 0, v1, s0
	v_dual_mov_b32 v8, 0 :: v_dual_mov_b32 v3, 0
	s_clause 0x1f
	global_load_b32 v16, v[0:1], off
	global_load_b32 v21, v[0:1], off offset:224
	global_load_b32 v47, v[0:1], off offset:448
	;; [unrolled: 1-line block ×31, first 2 shown]
	s_mov_b32 s4, exec_lo
                                        ; implicit-def: $vgpr9
	v_cmpx_gt_u32_e32 0x1ea, v19
	s_cbranch_execz .LBB0_14
; %bb.13:
	s_clause 0x3
	global_load_b32 v20, v[0:1], off offset:1792
	global_load_b32 v11, v[0:1], off offset:3752
	global_load_b32 v61, v[0:1], off offset:5712
	global_load_b32 v60, v[0:1], off offset:7672
	s_wait_loadcnt 0x3
	v_lshrrev_b32_e32 v3, 16, v20
	s_wait_loadcnt 0x2
	v_lshrrev_b32_e32 v8, 16, v11
	;; [unrolled: 2-line block ×4, first 2 shown]
.LBB0_14:
	s_wait_alu 0xfffe
	s_or_b32 exec_lo, exec_lo, s4
	s_wait_loadcnt 0x1f
	v_lshrrev_b32_e32 v22, 16, v16
	s_wait_loadcnt 0x17
	v_lshrrev_b32_e32 v23, 16, v56
	;; [unrolled: 2-line block ×4, first 2 shown]
	v_lshrrev_b32_e32 v24, 16, v21
	v_lshrrev_b32_e32 v27, 16, v54
	v_lshrrev_b32_e32 v29, 16, v69
	s_wait_loadcnt 0x6
	v_lshrrev_b32_e32 v74, 16, v72
	v_lshrrev_b32_e32 v25, 16, v47
	v_lshrrev_b32_e32 v30, 16, v55
	v_lshrrev_b32_e32 v36, 16, v67
	s_wait_loadcnt 0x5
	v_lshrrev_b32_e32 v78, 16, v70
	;; [unrolled: 5-line block ×7, first 2 shown]
.LBB0_15:
	s_or_b32 exec_lo, exec_lo, s1
	v_sub_f16_e32 v0, v16, v68
	v_sub_f16_e32 v71, v56, v71
	v_sub_f16_e32 v1, v21, v69
	v_sub_f16_e32 v68, v54, v72
	v_sub_f16_e32 v72, v47, v67
	v_fma_f16 v2, v16, 2.0, -v0
	v_fma_f16 v16, v56, 2.0, -v71
	v_sub_f16_e32 v56, v23, v73
	v_fma_f16 v21, v21, 2.0, -v1
	v_fma_f16 v69, v54, 2.0, -v68
	v_sub_f16_e32 v54, v55, v70
	v_sub_f16_e32 v67, v27, v74
	v_add_f16_e32 v73, v0, v56
	v_fma_f16 v47, v47, 2.0, -v72
	v_sub_f16_e32 v74, v21, v69
	v_fma_f16 v55, v55, 2.0, -v54
	v_sub_f16_e32 v69, v30, v78
	v_fma_f16 v81, v0, 2.0, -v73
	v_add_f16_e32 v82, v1, v67
	v_sub_f16_e32 v0, v17, v62
	v_sub_f16_e32 v83, v47, v55
	;; [unrolled: 1-line block ×3, first 2 shown]
	v_add_f16_e32 v84, v72, v69
	v_fma_f16 v62, v1, 2.0, -v82
	v_fma_f16 v1, v17, 2.0, -v0
	;; [unrolled: 1-line block ×4, first 2 shown]
	v_sub_f16_e32 v51, v49, v64
	v_fma_f16 v64, v72, 2.0, -v84
	v_sub_f16_e32 v72, v14, v57
	v_sub_f16_e32 v47, v48, v63
	;; [unrolled: 1-line block ×5, first 2 shown]
	v_fma_f16 v14, v14, 2.0, -v72
	v_fma_f16 v48, v48, 2.0, -v47
	v_add_f16_e32 v63, v0, v66
	v_sub_f16_e32 v57, v34, v77
	v_fma_f16 v77, v1, 2.0, -v17
	v_sub_f16_e32 v1, v13, v52
	v_sub_f16_e32 v88, v14, v48
	;; [unrolled: 1-line block ×3, first 2 shown]
	v_fma_f16 v15, v15, 2.0, -v59
	v_fma_f16 v49, v49, 2.0, -v51
	;; [unrolled: 1-line block ×3, first 2 shown]
	v_sub_f16_e32 v70, v38, v76
	v_fma_f16 v76, v14, 2.0, -v88
	v_fma_f16 v0, v13, 2.0, -v1
	;; [unrolled: 1-line block ×3, first 2 shown]
	v_sub_f16_e32 v14, v12, v50
	v_sub_f16_e32 v46, v18, v53
	v_sub_f16_e32 v75, v15, v49
	v_sub_f16_e32 v49, v37, v79
	v_sub_f16_e32 v79, v0, v13
	v_fma_f16 v12, v12, 2.0, -v14
	v_fma_f16 v13, v18, 2.0, -v46
	v_sub_f16_e32 v16, v2, v16
	v_sub_f16_e32 v50, v43, v80
	v_add_f16_e32 v91, v1, v49
	v_fma_f16 v21, v21, 2.0, -v74
	v_sub_f16_e32 v92, v12, v13
	v_fma_f16 v2, v2, 2.0, -v16
	v_add_nc_u32_e32 v13, 0x70, v10
	v_add_f16_e32 v86, v59, v57
	v_fma_f16 v87, v15, 2.0, -v75
	v_fma_f16 v94, v12, 2.0, -v92
	v_add_nc_u32_e32 v12, 56, v10
	v_add_nc_u32_e32 v15, 0xa8, v10
	v_fma_f16 v80, v0, 2.0, -v79
	v_add_f16_e32 v93, v14, v50
	v_sub_f16_e32 v0, v8, v65
	v_fma_f16 v65, v1, 2.0, -v91
	v_sub_f16_e32 v52, v11, v60
	v_lshl_add_u32 v1, v10, 3, 0
	v_pack_b32_f16 v16, v16, v73
	v_pack_b32_f16 v60, v2, v81
	v_add_f16_e32 v90, v72, v70
	v_sub_f16_e32 v53, v20, v61
	v_lshl_add_u32 v2, v12, 3, 0
	v_pack_b32_f16 v61, v74, v82
	v_pack_b32_f16 v21, v21, v62
	v_lshl_add_u32 v58, v13, 3, 0
	v_pack_b32_f16 v62, v83, v84
	v_pack_b32_f16 v64, v78, v64
	v_fma_f16 v89, v59, 2.0, -v86
	v_lshl_add_u32 v59, v15, 3, 0
	v_pack_b32_f16 v17, v17, v63
	v_pack_b32_f16 v63, v77, v85
	v_fma_f16 v95, v14, 2.0, -v93
	v_add_nc_u32_e32 v14, 0xe0, v10
	ds_store_2addr_b32 v1, v60, v16 offset1:1
	ds_store_2addr_b32 v2, v21, v61 offset1:1
	;; [unrolled: 1-line block ×4, first 2 shown]
	v_add_nc_u32_e32 v16, 0x118, v10
	v_add_nc_u32_e32 v17, 0x150, v10
	;; [unrolled: 1-line block ×3, first 2 shown]
	v_fma_f16 v72, v72, 2.0, -v90
	v_add_f16_e32 v18, v53, v0
	v_lshl_add_u32 v60, v14, 3, 0
	v_pack_b32_f16 v73, v75, v86
	v_pack_b32_f16 v74, v87, v89
	v_lshl_add_u32 v61, v16, 3, 0
	v_lshl_add_u32 v63, v17, 3, 0
	;; [unrolled: 1-line block ×3, first 2 shown]
	v_cmp_gt_u32_e64 s0, 42, v10
	v_lshl_add_u32 v62, v19, 3, 0
	v_pack_b32_f16 v75, v88, v90
	v_pack_b32_f16 v72, v76, v72
	;; [unrolled: 1-line block ×6, first 2 shown]
	ds_store_2addr_b32 v60, v74, v73 offset1:1
	ds_store_2addr_b32 v61, v72, v75 offset1:1
	;; [unrolled: 1-line block ×4, first 2 shown]
	s_and_saveexec_b32 s1, s0
	s_cbranch_execz .LBB0_17
; %bb.16:
	v_fma_f16 v20, v20, 2.0, -v53
	v_fma_f16 v11, v11, 2.0, -v52
	;; [unrolled: 1-line block ×3, first 2 shown]
	s_delay_alu instid0(VALU_DEP_2) | instskip(NEXT) | instid1(VALU_DEP_1)
	v_sub_f16_e32 v11, v20, v11
	v_fma_f16 v20, v20, 2.0, -v11
	v_perm_b32 v11, v18, v11, 0x5040100
	s_delay_alu instid0(VALU_DEP_2)
	v_pack_b32_f16 v20, v20, v53
	ds_store_2addr_b32 v62, v20, v11 offset1:1
.LBB0_17:
	s_wait_alu 0xfffe
	s_or_b32 exec_lo, exec_lo, s1
	v_sub_f16_e32 v11, v22, v26
	v_sub_f16_e32 v20, v24, v29
	v_fma_f16 v23, v23, 2.0, -v56
	v_fma_f16 v26, v27, 2.0, -v67
	v_sub_f16_e32 v27, v25, v36
	v_fma_f16 v22, v22, 2.0, -v11
	v_fma_f16 v24, v24, 2.0, -v20
	;; [unrolled: 3-line block ×3, first 2 shown]
	v_sub_f16_e32 v67, v22, v23
	v_sub_f16_e32 v26, v24, v26
	;; [unrolled: 1-line block ×3, first 2 shown]
	v_fma_f16 v69, v11, 2.0, -v65
	v_sub_f16_e32 v68, v20, v68
	v_fma_f16 v71, v22, 2.0, -v67
	v_fma_f16 v72, v24, 2.0, -v26
	;; [unrolled: 1-line block ×4, first 2 shown]
	v_sub_f16_e32 v24, v32, v40
	v_sub_f16_e32 v73, v25, v29
	v_fma_f16 v66, v20, 2.0, -v68
	v_sub_f16_e32 v77, v23, v55
	v_sub_f16_e32 v76, v11, v22
	v_fma_f16 v20, v32, 2.0, -v24
	v_fma_f16 v22, v34, 2.0, -v57
	;; [unrolled: 1-line block ×3, first 2 shown]
	v_sub_f16_e32 v25, v35, v42
	v_sub_f16_e32 v75, v27, v54
	v_fma_f16 v79, v11, 2.0, -v76
	v_sub_f16_e32 v80, v20, v22
	v_fma_f16 v81, v23, 2.0, -v77
	;; [unrolled: 2-line block ×3, first 2 shown]
	v_fma_f16 v22, v38, 2.0, -v70
	v_fma_f16 v70, v20, 2.0, -v80
	v_sub_f16_e32 v20, v33, v44
	v_sub_f16_e32 v23, v41, v45
	v_fma_f16 v78, v27, 2.0, -v75
	v_fma_f16 v83, v24, 2.0, -v82
	v_sub_f16_e32 v84, v11, v22
	v_fma_f16 v22, v33, 2.0, -v20
	v_fma_f16 v24, v37, 2.0, -v49
	;; [unrolled: 1-line block ×4, first 2 shown]
	v_sub_f16_e32 v85, v25, v47
	v_fma_f16 v86, v11, 2.0, -v84
	v_sub_f16_e32 v88, v22, v24
	v_sub_f16_e32 v89, v20, v48
	;; [unrolled: 1-line block ×5, first 2 shown]
	v_lshl_add_u32 v11, v10, 1, 0
	v_fma_f16 v87, v25, 2.0, -v85
	v_fma_f16 v92, v22, 2.0, -v88
	v_fma_f16 v93, v20, 2.0, -v89
	v_fma_f16 v94, v27, 2.0, -v90
	v_fma_f16 v95, v23, 2.0, -v91
	v_sub_f16_e32 v20, v9, v52
	global_wb scope:SCOPE_SE
	s_wait_dscnt 0x0
	s_wait_kmcnt 0x0
	s_barrier_signal -1
	s_barrier_wait -1
	global_inv scope:SCOPE_SE
	ds_load_u16 v29, v11 offset:3472
	ds_load_u16 v41, v11 offset:672
	;; [unrolled: 1-line block ×3, first 2 shown]
	ds_load_u16 v22, v11
	ds_load_u16 v23, v11 offset:112
	ds_load_u16 v24, v11 offset:224
	;; [unrolled: 1-line block ×31, first 2 shown]
	v_pack_b32_f16 v69, v71, v69
	v_pack_b32_f16 v65, v67, v65
	;; [unrolled: 1-line block ×10, first 2 shown]
	global_wb scope:SCOPE_SE
	s_wait_dscnt 0x0
	s_barrier_signal -1
	s_barrier_wait -1
	global_inv scope:SCOPE_SE
	v_pack_b32_f16 v74, v86, v87
	v_pack_b32_f16 v75, v84, v85
	;; [unrolled: 1-line block ×6, first 2 shown]
	ds_store_2addr_b32 v1, v69, v65 offset1:1
	ds_store_2addr_b32 v2, v66, v26 offset1:1
	ds_store_2addr_b32 v58, v67, v68 offset1:1
	ds_store_2addr_b32 v59, v71, v72 offset1:1
	ds_store_2addr_b32 v60, v70, v73 offset1:1
	ds_store_2addr_b32 v61, v74, v75 offset1:1
	ds_store_2addr_b32 v63, v76, v77 offset1:1
	ds_store_2addr_b32 v64, v78, v79 offset1:1
	s_and_saveexec_b32 s1, s0
	s_cbranch_execz .LBB0_19
; %bb.18:
	v_fma_f16 v1, v3, 2.0, -v9
	v_fma_f16 v0, v8, 2.0, -v0
	;; [unrolled: 1-line block ×3, first 2 shown]
	s_delay_alu instid0(VALU_DEP_2) | instskip(NEXT) | instid1(VALU_DEP_1)
	v_sub_f16_e32 v0, v1, v0
	v_fma_f16 v1, v1, 2.0, -v0
	v_perm_b32 v0, v20, v0, 0x5040100
	s_delay_alu instid0(VALU_DEP_2)
	v_pack_b32_f16 v1, v1, v2
	ds_store_2addr_b32 v62, v1, v0 offset1:1
.LBB0_19:
	s_wait_alu 0xfffe
	s_or_b32 exec_lo, exec_lo, s1
	v_and_b32_e32 v26, 3, v10
	global_wb scope:SCOPE_SE
	s_wait_dscnt 0x0
	s_barrier_signal -1
	s_barrier_wait -1
	global_inv scope:SCOPE_SE
	v_mul_u32_u24_e32 v0, 6, v26
	v_lshrrev_b32_e32 v85, 2, v12
	v_lshrrev_b32_e32 v58, 2, v10
	v_lshrrev_b32_e32 v90, 2, v13
	v_cmp_gt_u32_e64 s0, 28, v10
	v_lshlrev_b32_e32 v8, 2, v0
	v_mul_u32_u24_e32 v92, 28, v85
	v_mul_u32_u24_e32 v91, 28, v58
	;; [unrolled: 1-line block ×3, first 2 shown]
	s_clause 0x1
	global_load_b128 v[0:3], v8, s[8:9]
	global_load_b64 v[8:9], v8, s[8:9] offset:16
	ds_load_u16 v81, v11 offset:560
	ds_load_u16 v76, v11 offset:672
	;; [unrolled: 1-line block ×30, first 2 shown]
	v_or_b32_e32 v127, v92, v26
	v_or_b32_e32 v126, v91, v26
	ds_load_u16 v111, v11
	ds_load_u16 v103, v11 offset:112
	ds_load_u16 v96, v11 offset:224
	;; [unrolled: 1-line block ×4, first 2 shown]
	global_wb scope:SCOPE_SE
	s_wait_loadcnt_dscnt 0x0
	s_barrier_signal -1
	s_barrier_wait -1
	global_inv scope:SCOPE_SE
	v_lshrrev_b32_e32 v90, 16, v0
	v_lshrrev_b32_e32 v92, 16, v1
	;; [unrolled: 1-line block ×6, first 2 shown]
	v_mul_f16_e32 v118, v81, v90
	v_mul_f16_e32 v124, v53, v90
	;; [unrolled: 1-line block ×3, first 2 shown]
	v_mul_f16_e64 v128, v56, v92
	v_mul_f16_e32 v119, v84, v93
	v_mul_f16_e64 v129, v52, v93
	v_mul_f16_e32 v120, v87, v94
	;; [unrolled: 2-line block ×22, first 2 shown]
	v_mul_f16_e32 v91, v67, v90
	v_mul_f16_e64 v151, v38, v90
	v_mul_f16_e32 v90, v62, v92
	v_mul_f16_e64 v152, v35, v92
	;; [unrolled: 2-line block ×6, first 2 shown]
	v_mul_f16_e64 v156, v39, v123
	v_fmac_f16_e32 v118, v53, v0
	v_fma_f16 v123, v81, v0, -v124
	v_fmac_f16_e32 v117, v56, v1
	v_fma_f16 v124, v88, v1, -v128
	;; [unrolled: 2-line block ×14, first 2 shown]
	v_fma_f16 v71, v72, v2, -v141
	v_fma_f16 v72, v73, v3, -v142
	v_fmac_f16_e32 v108, v45, v8
	v_fma_f16 v73, v74, v8, -v143
	v_fmac_f16_e32 v109, v51, v9
	v_fma_f16 v74, v80, v9, -v144
	v_fmac_f16_e32 v98, v28, v0
	v_fmac_f16_e32 v97, v30, v1
	v_fmac_f16_e32 v101, v34, v8
	;; [unrolled: 1-line block ×9, first 2 shown]
	v_fma_f16 v70, v59, v0, -v145
	v_fma_f16 v60, v60, v1, -v146
	v_fmac_f16_e32 v99, v32, v2
	v_fma_f16 v59, v61, v2, -v147
	v_fmac_f16_e32 v100, v33, v3
	v_fma_f16 v61, v63, v3, -v148
	v_fma_f16 v63, v65, v8, -v149
	v_fma_f16 v65, v75, v9, -v150
	v_fma_f16 v53, v67, v0, -v151
	v_fma_f16 v54, v62, v1, -v152
	v_fmac_f16_e32 v92, v37, v2
	v_fma_f16 v50, v66, v2, -v153
	v_fmac_f16_e32 v93, v40, v3
	v_fma_f16 v55, v69, v3, -v154
	v_fma_f16 v56, v64, v8, -v155
	;; [unrolled: 1-line block ×3, first 2 shown]
	v_add_f16_e32 v0, v118, v122
	v_sub_f16_e32 v1, v123, v86
	v_add_f16_e32 v2, v117, v121
	v_sub_f16_e32 v3, v124, v89
	;; [unrolled: 2-line block ×8, first 2 shown]
	v_sub_f16_e32 v39, v72, v71
	v_add_f16_e32 v40, v98, v102
	v_add_f16_e32 v42, v97, v101
	;; [unrolled: 1-line block ×5, first 2 shown]
	v_sub_f16_e32 v41, v70, v65
	v_sub_f16_e32 v43, v60, v63
	v_add_f16_e32 v44, v99, v100
	v_sub_f16_e32 v45, v61, v59
	v_sub_f16_e32 v49, v54, v56
	v_add_f16_e32 v51, v92, v93
	v_sub_f16_e32 v52, v55, v50
	v_add_f16_e32 v62, v2, v0
	v_sub_f16_e32 v64, v2, v0
	v_sub_f16_e32 v0, v0, v8
	;; [unrolled: 1-line block ×3, first 2 shown]
	v_add_f16_e32 v66, v9, v3
	v_sub_f16_e32 v67, v9, v3
	v_sub_f16_e32 v3, v3, v1
	v_add_f16_e32 v68, v30, v28
	v_sub_f16_e32 v69, v30, v28
	v_sub_f16_e32 v28, v28, v32
	;; [unrolled: 1-line block ×3, first 2 shown]
	v_add_f16_e32 v75, v33, v31
	v_sub_f16_e32 v80, v33, v31
	v_sub_f16_e32 v31, v31, v29
	v_add_f16_e64 v128, v36, v34
	v_add_f16_e64 v130, v39, v37
	v_sub_f16_e64 v131, v39, v37
	v_sub_f16_e32 v37, v37, v35
	v_add_f16_e64 v132, v42, v40
	v_add_f16_e64 v136, v48, v46
	v_sub_f16_e32 v47, v53, v57
	v_sub_f16_e32 v9, v1, v9
	;; [unrolled: 1-line block ×3, first 2 shown]
	v_sub_f16_e64 v129, v36, v34
	v_sub_f16_e32 v34, v34, v38
	v_sub_f16_e32 v36, v38, v36
	;; [unrolled: 1-line block ×3, first 2 shown]
	v_sub_f16_e64 v133, v42, v40
	v_sub_f16_e32 v40, v40, v44
	v_sub_f16_e32 v42, v44, v42
	v_add_f16_e64 v134, v45, v43
	v_sub_f16_e64 v135, v45, v43
	v_sub_f16_e32 v43, v43, v41
	v_sub_f16_e64 v137, v48, v46
	v_sub_f16_e32 v46, v46, v51
	v_sub_f16_e32 v48, v51, v48
	v_add_f16_e64 v138, v52, v49
	v_sub_f16_e64 v139, v52, v49
	v_add_f16_e32 v8, v8, v62
	v_add_f16_e32 v1, v66, v1
	v_add_f16_e32 v32, v32, v68
	v_add_f16_e32 v29, v75, v29
	v_add_f16_e64 v38, v38, v128
	v_add_f16_e64 v35, v130, v35
	;; [unrolled: 1-line block ×3, first 2 shown]
	v_mul_f16_e32 v0, 0x3a52, v0
	v_add_f16_e64 v51, v51, v136
	v_mul_f16_e32 v62, 0x2b26, v2
	v_mul_f16_e32 v66, 0x3846, v67
	;; [unrolled: 1-line block ×7, first 2 shown]
	v_mul_f16_e64 v130, 0x3846, v131
	v_mul_f16_e64 v131, 0xbb00, v37
	v_sub_f16_e32 v45, v41, v45
	v_sub_f16_e32 v52, v47, v52
	;; [unrolled: 1-line block ×3, first 2 shown]
	v_add_f16_e64 v41, v134, v41
	v_add_f16_e64 v47, v138, v47
	v_mul_f16_e32 v34, 0x3a52, v34
	v_mul_f16_e64 v128, 0x2b26, v36
	v_mul_f16_e32 v40, 0x3a52, v40
	v_mul_f16_e64 v132, 0x2b26, v42
	v_mul_f16_e64 v134, 0x3846, v135
	;; [unrolled: 1-line block ×3, first 2 shown]
	v_mul_f16_e32 v46, 0x3a52, v46
	v_mul_f16_e64 v138, 0x3846, v139
	v_fmamk_f16 v2, v2, 0x2b26, v0
	v_fma_f16 v62, v64, 0x39e0, -v62
	v_fma_f16 v0, v64, 0xb9e0, -v0
	;; [unrolled: 1-line block ×3, first 2 shown]
	v_fmamk_f16 v64, v9, 0xb574, v66
	v_fma_f16 v9, v9, 0x3574, -v67
	v_fmamk_f16 v30, v30, 0x2b26, v28
	v_fma_f16 v66, v69, 0x39e0, -v68
	v_fma_f16 v28, v69, 0xb9e0, -v28
	;; [unrolled: 1-line block ×3, first 2 shown]
	v_fmamk_f16 v67, v33, 0xb574, v75
	v_fma_f16 v33, v33, 0x3574, -v80
	v_fma_f16 v37, v37, 0xbb00, -v130
	v_fma_f16 v69, 0xb574, v39, v130
	v_fma_f16 v39, v39, 0x3574, -v131
	v_add_f16_e32 v22, v22, v8
	v_add_f16_e32 v23, v23, v32
	;; [unrolled: 1-line block ×5, first 2 shown]
	v_mul_f16_e64 v136, 0x2b26, v48
	v_mul_f16_e64 v139, 0xbb00, v49
	v_fmamk_f16 v36, v36, 0x2b26, v34
	v_fma_f16 v68, v129, 0x39e0, -v128
	v_fma_f16 v34, v129, 0xb9e0, -v34
	v_fmamk_f16 v42, v42, 0x2b26, v40
	v_fma_f16 v75, v133, 0x39e0, -v132
	v_fma_f16 v40, v133, 0xb9e0, -v40
	;; [unrolled: 1-line block ×3, first 2 shown]
	v_fma_f16 v80, 0xb574, v45, v134
	v_fma_f16 v45, v45, 0x3574, -v135
	v_fmamk_f16 v48, v48, 0x2b26, v46
	v_fma_f16 v129, 0xb574, v52, v138
	v_fmac_f16_e32 v64, 0xb70e, v1
	v_fmac_f16_e32 v3, 0xb70e, v1
	;; [unrolled: 1-line block ×9, first 2 shown]
	v_fmamk_f16 v1, v8, 0xbcab, v22
	v_fmamk_f16 v8, v32, 0xbcab, v23
	;; [unrolled: 1-line block ×5, first 2 shown]
	v_fma_f16 v128, v137, 0x39e0, -v136
	v_fma_f16 v46, v137, 0xb9e0, -v46
	;; [unrolled: 1-line block ×4, first 2 shown]
	v_fmac_f16_e32 v80, 0xb70e, v41
	v_fmac_f16_e32 v43, 0xb70e, v41
	;; [unrolled: 1-line block ×3, first 2 shown]
	v_fmac_f16_e64 v129, 0xb70e, v47
	v_add_f16_e32 v2, v2, v1
	v_add_f16_e32 v38, v62, v1
	;; [unrolled: 1-line block ×13, first 2 shown]
	v_fmac_f16_e32 v49, 0xb70e, v47
	v_fmac_f16_e32 v52, 0xb70e, v47
	v_add_f16_e64 v42, v128, v35
	v_add_f16_e32 v35, v46, v35
	v_add_f16_e32 v46, v9, v0
	v_sub_f16_e32 v47, v38, v3
	v_add_f16_e32 v3, v3, v38
	v_sub_f16_e32 v0, v0, v9
	v_add_f16_e32 v9, v67, v1
	v_add_f16_e32 v38, v33, v8
	v_sub_f16_e32 v48, v30, v31
	v_add_f16_e32 v30, v31, v30
	v_sub_f16_e32 v8, v8, v33
	v_sub_f16_e32 v31, v1, v67
	v_add_f16_e32 v33, v69, v28
	v_sub_f16_e32 v28, v28, v69
	v_sub_f16_e32 v69, v41, v43
	v_add_f16_e32 v41, v43, v41
	v_add_f16_e64 v43, v129, v40
	v_sub_f16_e64 v1, v40, v129
	v_lshrrev_b32_e32 v40, 2, v15
	v_add_f16_e32 v44, v64, v2
	v_sub_f16_e32 v2, v2, v64
	v_add_f16_e32 v51, v39, v29
	v_sub_f16_e32 v29, v29, v39
	;; [unrolled: 2-line block ×4, first 2 shown]
	v_lshl_add_u32 v64, v126, 1, 0
	v_mul_u32_u24_e32 v40, 28, v40
	v_lshrrev_b32_e32 v52, 2, v14
	v_sub_f16_e32 v75, v42, v49
	v_add_f16_e32 v42, v49, v42
	v_or_b32_e32 v49, v125, v26
	ds_store_b16 v64, v22
	ds_store_b16 v64, v44 offset:8
	ds_store_b16 v64, v46 offset:16
	;; [unrolled: 1-line block ×6, first 2 shown]
	v_or_b32_e32 v0, v40, v26
	v_mul_u32_u24_e32 v2, 28, v52
	v_lshl_add_u32 v62, v127, 1, 0
	v_lshl_add_u32 v66, v49, 1, 0
	v_sub_f16_e32 v68, v36, v37
	v_lshl_add_u32 v67, v0, 1, 0
	v_or_b32_e32 v0, v2, v26
	v_add_f16_e32 v36, v37, v36
	v_add_f16_e32 v37, v80, v34
	v_sub_f16_e32 v34, v34, v80
	ds_store_b16 v62, v23
	ds_store_b16 v62, v9 offset:8
	ds_store_b16 v62, v38 offset:16
	;; [unrolled: 1-line block ×6, first 2 shown]
	ds_store_b16 v66, v24
	ds_store_b16 v66, v33 offset:8
	ds_store_b16 v66, v51 offset:16
	;; [unrolled: 1-line block ×6, first 2 shown]
	v_lshl_add_u32 v68, v0, 1, 0
	ds_store_b16 v67, v25
	ds_store_b16 v67, v37 offset:8
	ds_store_b16 v67, v39 offset:16
	;; [unrolled: 1-line block ×6, first 2 shown]
	ds_store_b16 v68, v27
	ds_store_b16 v68, v43 offset:8
	ds_store_b16 v68, v45 offset:16
	;; [unrolled: 1-line block ×6, first 2 shown]
	global_wb scope:SCOPE_SE
	s_wait_dscnt 0x0
	s_barrier_signal -1
	s_barrier_wait -1
	global_inv scope:SCOPE_SE
	ds_load_u16 v52, v11
	ds_load_u16 v35, v11 offset:112
	ds_load_u16 v36, v11 offset:224
	;; [unrolled: 1-line block ×15, first 2 shown]
	v_lshl_add_u32 v0, v19, 1, 0
	ds_load_u16 v27, v11 offset:2856
	ds_load_u16 v8, v11 offset:2968
	;; [unrolled: 1-line block ×16, first 2 shown]
	ds_load_u16 v51, v0
	ds_load_u16 v28, v11 offset:3752
	s_and_saveexec_b32 s1, s0
	s_cbranch_execz .LBB0_21
; %bb.20:
	ds_load_u16 v1, v11 offset:1904
	ds_load_u16 v18, v11 offset:3864
.LBB0_21:
	s_wait_alu 0xfffe
	s_or_b32 exec_lo, exec_lo, s1
	v_add_f16_e32 v69, v123, v86
	v_add_f16_e32 v75, v124, v89
	;; [unrolled: 1-line block ×3, first 2 shown]
	v_sub_f16_e32 v87, v117, v121
	v_sub_f16_e32 v88, v120, v119
	;; [unrolled: 1-line block ×3, first 2 shown]
	v_add_f16_e32 v89, v75, v69
	v_sub_f16_e32 v117, v75, v69
	v_sub_f16_e32 v69, v69, v86
	;; [unrolled: 1-line block ×3, first 2 shown]
	v_add_f16_e32 v118, v88, v87
	v_add_f16_e32 v86, v86, v89
	v_sub_f16_e32 v89, v88, v87
	v_sub_f16_e32 v88, v80, v88
	;; [unrolled: 1-line block ×3, first 2 shown]
	v_add_f16_e32 v80, v118, v80
	v_add_f16_e32 v111, v111, v86
	v_mul_f16_e32 v118, 0x2b26, v75
	v_mul_f16_e32 v89, 0x3846, v89
	;; [unrolled: 1-line block ×4, first 2 shown]
	v_fmamk_f16 v86, v86, 0xbcab, v111
	v_fma_f16 v118, v117, 0x39e0, -v118
	v_fma_f16 v87, v87, 0xbb00, -v89
	v_fmamk_f16 v75, v75, 0x2b26, v69
	v_fma_f16 v69, v117, 0xb9e0, -v69
	v_fmamk_f16 v117, v88, 0xb574, v89
	v_add_f16_e32 v89, v118, v86
	v_fmac_f16_e32 v87, 0xb70e, v80
	v_add_f16_e32 v81, v81, v82
	v_add_f16_e32 v79, v84, v79
	;; [unrolled: 1-line block ×3, first 2 shown]
	v_sub_f16_e32 v83, v110, v115
	v_add_f16_e32 v118, v87, v89
	v_sub_f16_e32 v87, v89, v87
	v_sub_f16_e32 v84, v114, v113
	v_add_f16_e32 v89, v79, v81
	v_sub_f16_e32 v82, v112, v116
	v_sub_f16_e32 v110, v79, v81
	;; [unrolled: 1-line block ×4, first 2 shown]
	v_add_f16_e32 v112, v84, v83
	v_add_f16_e32 v78, v78, v89
	v_sub_f16_e32 v89, v84, v83
	v_sub_f16_e32 v84, v82, v84
	;; [unrolled: 1-line block ×3, first 2 shown]
	v_add_f16_e32 v82, v112, v82
	v_add_f16_e32 v103, v103, v78
	v_mul_f16_e32 v112, 0x2b26, v79
	v_mul_f16_e32 v89, 0x3846, v89
	v_fma_f16 v88, v88, 0x3574, -v119
	v_mul_f16_e32 v81, 0x3a52, v81
	v_mul_f16_e32 v113, 0xbb00, v83
	v_fmamk_f16 v78, v78, 0xbcab, v103
	v_fma_f16 v112, v110, 0x39e0, -v112
	v_fma_f16 v83, v83, 0xbb00, -v89
	v_add_f16_e32 v69, v69, v86
	v_fmac_f16_e32 v88, 0xb70e, v80
	v_fmamk_f16 v79, v79, 0x2b26, v81
	v_fma_f16 v81, v110, 0xb9e0, -v81
	v_fmamk_f16 v110, v84, 0xb574, v89
	v_add_f16_e32 v89, v112, v78
	v_fmac_f16_e32 v83, 0xb70e, v82
	v_add_f16_e32 v74, v76, v74
	v_add_f16_e32 v73, v77, v73
	;; [unrolled: 1-line block ×3, first 2 shown]
	v_sub_f16_e32 v86, v69, v88
	v_add_f16_e32 v69, v88, v69
	v_add_f16_e32 v88, v83, v89
	v_sub_f16_e32 v83, v89, v83
	v_add_f16_e32 v71, v71, v72
	v_sub_f16_e32 v72, v104, v108
	v_sub_f16_e32 v77, v107, v106
	v_add_f16_e32 v89, v73, v74
	v_sub_f16_e32 v76, v105, v109
	v_sub_f16_e32 v104, v73, v74
	v_sub_f16_e32 v74, v74, v71
	v_sub_f16_e32 v73, v71, v73
	v_add_f16_e32 v105, v77, v72
	v_add_f16_e32 v71, v71, v89
	v_sub_f16_e32 v89, v77, v72
	v_sub_f16_e32 v77, v76, v77
	v_sub_f16_e32 v72, v72, v76
	v_add_f16_e32 v76, v105, v76
	v_add_f16_e32 v96, v96, v71
	v_mul_f16_e32 v105, 0x2b26, v73
	v_mul_f16_e32 v89, 0x3846, v89
	v_fma_f16 v84, v84, 0x3574, -v113
	v_mul_f16_e32 v74, 0x3a52, v74
	v_mul_f16_e32 v106, 0xbb00, v72
	v_fmamk_f16 v71, v71, 0xbcab, v96
	v_fma_f16 v105, v104, 0x39e0, -v105
	v_fma_f16 v72, v72, 0xbb00, -v89
	v_add_f16_e32 v79, v79, v78
	v_add_f16_e32 v78, v81, v78
	v_fmac_f16_e32 v84, 0xb70e, v82
	v_fmamk_f16 v73, v73, 0x2b26, v74
	v_fma_f16 v74, v104, 0xb9e0, -v74
	v_fmamk_f16 v104, v77, 0xb574, v89
	v_add_f16_e32 v89, v105, v71
	v_fmac_f16_e32 v72, 0xb70e, v76
	v_add_f16_e32 v65, v70, v65
	v_add_f16_e32 v60, v60, v63
	v_fmac_f16_e32 v110, 0xb70e, v82
	v_sub_f16_e32 v82, v78, v84
	v_add_f16_e32 v73, v73, v71
	v_add_f16_e32 v71, v74, v71
	;; [unrolled: 1-line block ×4, first 2 shown]
	v_sub_f16_e32 v72, v89, v72
	v_add_f16_e32 v59, v59, v61
	v_sub_f16_e32 v61, v97, v101
	v_sub_f16_e32 v70, v100, v99
	v_add_f16_e32 v89, v60, v65
	v_sub_f16_e32 v63, v98, v102
	v_sub_f16_e32 v97, v60, v65
	;; [unrolled: 1-line block ×4, first 2 shown]
	v_add_f16_e32 v98, v70, v61
	v_add_f16_e32 v59, v59, v89
	v_sub_f16_e32 v89, v70, v61
	v_sub_f16_e32 v70, v63, v70
	;; [unrolled: 1-line block ×3, first 2 shown]
	v_add_f16_e32 v63, v98, v63
	v_add_f16_e32 v85, v85, v59
	v_mul_f16_e32 v98, 0x2b26, v60
	v_mul_f16_e32 v89, 0x3846, v89
	v_fma_f16 v77, v77, 0x3574, -v106
	v_mul_f16_e32 v65, 0x3a52, v65
	v_mul_f16_e32 v99, 0xbb00, v61
	v_fmamk_f16 v59, v59, 0xbcab, v85
	v_fma_f16 v98, v97, 0x39e0, -v98
	v_fma_f16 v61, v61, 0xbb00, -v89
	v_fmac_f16_e32 v77, 0xb70e, v76
	v_fmamk_f16 v60, v60, 0x2b26, v65
	v_fma_f16 v65, v97, 0xb9e0, -v65
	v_fmamk_f16 v97, v70, 0xb574, v89
	v_fma_f16 v70, v70, 0x3574, -v99
	v_add_f16_e32 v89, v98, v59
	v_fmac_f16_e32 v61, 0xb70e, v63
	v_add_f16_e32 v53, v53, v57
	v_add_f16_e32 v54, v54, v56
	v_sub_f16_e32 v81, v79, v110
	v_fmac_f16_e32 v104, 0xb70e, v76
	v_add_f16_e32 v76, v110, v79
	v_sub_f16_e32 v79, v71, v77
	v_fmac_f16_e32 v97, 0xb70e, v63
	v_fmac_f16_e32 v70, 0xb70e, v63
	v_add_f16_e32 v63, v77, v71
	v_add_f16_e32 v77, v61, v89
	v_sub_f16_e32 v61, v89, v61
	v_sub_f16_e32 v56, v91, v95
	v_add_f16_e32 v50, v50, v55
	v_sub_f16_e32 v55, v90, v94
	v_sub_f16_e32 v57, v93, v92
	;; [unrolled: 3-line block ×3, first 2 shown]
	v_sub_f16_e32 v54, v50, v54
	v_add_f16_e32 v91, v57, v55
	v_add_f16_e32 v50, v50, v89
	v_sub_f16_e32 v89, v57, v55
	v_sub_f16_e32 v55, v55, v56
	;; [unrolled: 1-line block ×3, first 2 shown]
	v_add_f16_e32 v56, v91, v56
	v_add_f16_e32 v58, v58, v50
	v_mul_f16_e32 v53, 0x3a52, v53
	v_mul_f16_e32 v91, 0x2b26, v54
	;; [unrolled: 1-line block ×4, first 2 shown]
	v_fmamk_f16 v50, v50, 0xbcab, v58
	v_fmamk_f16 v54, v54, 0x2b26, v53
	v_fma_f16 v91, v90, 0x39e0, -v91
	v_fma_f16 v53, v90, 0xb9e0, -v53
	v_fmamk_f16 v90, v57, 0xb574, v89
	v_fma_f16 v55, v55, 0xbb00, -v89
	v_fma_f16 v57, v57, 0x3574, -v92
	v_fmac_f16_e32 v117, 0xb70e, v80
	v_add_f16_e32 v60, v60, v59
	v_add_f16_e32 v59, v65, v59
	;; [unrolled: 1-line block ×5, first 2 shown]
	v_fmac_f16_e32 v90, 0xb70e, v56
	v_fmac_f16_e32 v57, 0xb70e, v56
	;; [unrolled: 1-line block ×3, first 2 shown]
	v_sub_f16_e32 v80, v75, v117
	v_add_f16_e32 v75, v117, v75
	v_sub_f16_e32 v78, v73, v104
	v_add_f16_e32 v65, v104, v73
	v_sub_f16_e32 v71, v60, v97
	v_sub_f16_e32 v73, v59, v70
	v_add_f16_e32 v53, v70, v59
	v_add_f16_e32 v56, v97, v60
	v_sub_f16_e32 v59, v54, v90
	v_sub_f16_e32 v60, v50, v57
	v_add_f16_e32 v70, v55, v89
	v_sub_f16_e32 v55, v89, v55
	v_add_f16_e32 v57, v57, v50
	v_add_f16_e32 v50, v90, v54
	global_wb scope:SCOPE_SE
	s_wait_dscnt 0x0
	s_barrier_signal -1
	s_barrier_wait -1
	global_inv scope:SCOPE_SE
	ds_store_b16 v64, v111
	ds_store_b16 v64, v80 offset:8
	ds_store_b16 v64, v86 offset:16
	ds_store_b16 v64, v118 offset:24
	ds_store_b16 v64, v87 offset:32
	ds_store_b16 v64, v69 offset:40
	ds_store_b16 v64, v75 offset:48
	ds_store_b16 v62, v103
	ds_store_b16 v62, v81 offset:8
	ds_store_b16 v62, v82 offset:16
	ds_store_b16 v62, v88 offset:24
	ds_store_b16 v62, v83 offset:32
	ds_store_b16 v62, v74 offset:40
	ds_store_b16 v62, v76 offset:48
	;; [unrolled: 7-line block ×5, first 2 shown]
	global_wb scope:SCOPE_SE
	s_wait_dscnt 0x0
	s_barrier_signal -1
	s_barrier_wait -1
	global_inv scope:SCOPE_SE
	ds_load_u16 v59, v11
	ds_load_u16 v60, v11 offset:112
	ds_load_u16 v54, v11 offset:224
	;; [unrolled: 1-line block ×31, first 2 shown]
	ds_load_u16 v69, v0
	ds_load_u16 v77, v11 offset:3752
	s_and_saveexec_b32 s1, s0
	s_cbranch_execz .LBB0_23
; %bb.22:
	ds_load_u16 v50, v11 offset:1904
	ds_load_u16 v20, v11 offset:3864
.LBB0_23:
	s_wait_alu 0xfffe
	s_or_b32 exec_lo, exec_lo, s1
	v_lshrrev_b16 v87, 2, v12
	v_lshrrev_b16 v88, 2, v13
	v_subrev_nc_u32_e32 v89, 28, v10
	v_lshrrev_b16 v90, 2, v15
	v_lshrrev_b16 v91, 2, v14
	;; [unrolled: 1-line block ×5, first 2 shown]
	v_dual_mov_b32 v96, 0 :: v_dual_and_b32 v87, 63, v87
	v_and_b32_e32 v88, 63, v88
	v_cndmask_b32_e64 v95, v89, v10, s0
	v_and_b32_e32 v89, 63, v90
	v_and_b32_e32 v90, 0xffff, v91
	;; [unrolled: 1-line block ×5, first 2 shown]
	v_mul_lo_u16 v87, v87, 37
	v_mul_lo_u16 v88, v88, 37
	;; [unrolled: 1-line block ×3, first 2 shown]
	v_mul_u32_u24_e32 v90, 0x4925, v90
	v_mul_u32_u24_e32 v91, 0x4925, v91
	;; [unrolled: 1-line block ×4, first 2 shown]
	v_lshrrev_b16 v98, 8, v87
	v_lshrrev_b16 v105, 8, v88
	;; [unrolled: 1-line block ×3, first 2 shown]
	v_lshrrev_b32_e32 v109, 17, v90
	v_lshrrev_b32_e32 v110, 17, v91
	;; [unrolled: 1-line block ×4, first 2 shown]
	v_mul_lo_u16 v87, v98, 28
	v_mul_lo_u16 v88, v105, 28
	;; [unrolled: 1-line block ×7, first 2 shown]
	v_sub_nc_u16 v94, v12, v87
	v_sub_nc_u16 v97, v13, v88
	v_lshlrev_b64_e32 v[87:88], 2, v[95:96]
	v_sub_nc_u16 v89, v15, v89
	v_sub_nc_u16 v90, v14, v90
	;; [unrolled: 1-line block ×5, first 2 shown]
	v_and_b32_e32 v106, 0xff, v94
	v_and_b32_e32 v107, 0xff, v97
	v_add_co_u32 v87, s1, s8, v87
	v_and_b32_e32 v113, 0xff, v89
	v_and_b32_e32 v114, 0xffff, v90
	s_wait_alu 0xf1ff
	v_add_co_ci_u32_e64 v88, s1, s9, v88, s1
	v_and_b32_e32 v115, 0xffff, v91
	v_and_b32_e32 v116, 0xffff, v92
	;; [unrolled: 1-line block ×3, first 2 shown]
	v_lshlrev_b32_e32 v94, 2, v106
	v_lshlrev_b32_e32 v96, 2, v107
	;; [unrolled: 1-line block ×7, first 2 shown]
	s_clause 0x7
	global_load_b32 v90, v[87:88], off offset:96
	global_load_b32 v91, v94, s[8:9] offset:96
	global_load_b32 v92, v96, s[8:9] offset:96
	;; [unrolled: 1-line block ×7, first 2 shown]
	v_lshrrev_b16 v94, 2, v19
	v_add_nc_u16 v96, v10, 0x1f8
	v_add_nc_u16 v97, v10, 0x230
	;; [unrolled: 1-line block ×4, first 2 shown]
	v_and_b32_e32 v94, 0xffff, v94
	v_lshrrev_b16 v101, 2, v96
	v_lshrrev_b16 v102, 2, v97
	;; [unrolled: 1-line block ×4, first 2 shown]
	v_mul_u32_u24_e32 v94, 0x4925, v94
	v_and_b32_e32 v101, 0xffff, v101
	v_and_b32_e32 v102, 0xffff, v102
	;; [unrolled: 1-line block ×4, first 2 shown]
	v_lshrrev_b32_e32 v118, 17, v94
	v_mul_u32_u24_e32 v94, 0x4925, v101
	v_mul_u32_u24_e32 v101, 0x4925, v102
	v_mul_u32_u24_e32 v102, 0x4925, v103
	v_mul_u32_u24_e32 v103, 0x4925, v104
	v_mul_lo_u16 v104, v118, 28
	v_lshrrev_b32_e32 v119, 17, v94
	v_lshrrev_b32_e32 v120, 17, v101
	;; [unrolled: 1-line block ×4, first 2 shown]
	v_sub_nc_u16 v19, v19, v104
	v_mul_lo_u16 v94, v119, 28
	v_mul_lo_u16 v101, v120, 28
	;; [unrolled: 1-line block ×4, first 2 shown]
	v_and_b32_e32 v123, 0xffff, v19
	v_sub_nc_u16 v19, v96, v94
	v_sub_nc_u16 v94, v97, v101
	v_sub_nc_u16 v96, v99, v102
	v_sub_nc_u16 v97, v100, v103
	v_add_nc_u16 v100, v10, 0x310
	v_and_b32_e32 v124, 0xffff, v19
	v_add_nc_u16 v19, v10, 0x2d8
	v_add_nc_u16 v101, v10, 0x348
	v_or_b32_e32 v102, 0x380, v10
	v_add_nc_u16 v104, v10, 0x3b8
	v_lshrrev_b16 v129, 2, v100
	v_lshrrev_b16 v128, 2, v19
	v_lshrrev_b16 v130, 2, v101
	v_lshrrev_b16 v131, 2, v102
	v_lshrrev_b16 v132, 2, v104
	v_and_b32_e32 v129, 0xffff, v129
	v_and_b32_e32 v128, 0xffff, v128
	;; [unrolled: 1-line block ×5, first 2 shown]
	v_mul_u32_u24_e32 v129, 0x4925, v129
	v_mul_u32_u24_e32 v128, 0x4925, v128
	;; [unrolled: 1-line block ×5, first 2 shown]
	v_lshrrev_b32_e32 v129, 17, v129
	v_lshrrev_b32_e32 v128, 17, v128
	;; [unrolled: 1-line block ×5, first 2 shown]
	v_mul_lo_u16 v134, v129, 28
	v_mul_lo_u16 v133, v128, 28
	v_mul_lo_u16 v135, v130, 28
	v_mul_lo_u16 v136, v131, 28
	v_mul_lo_u16 v132, v132, 28
	v_sub_nc_u16 v100, v100, v134
	v_sub_nc_u16 v19, v19, v133
	;; [unrolled: 1-line block ×5, first 2 shown]
	v_and_b32_e32 v125, 0xffff, v94
	v_and_b32_e32 v126, 0xffff, v96
	;; [unrolled: 1-line block ×3, first 2 shown]
	v_lshlrev_b32_e32 v99, 2, v123
	v_and_b32_e32 v132, 0xffff, v19
	v_lshlrev_b32_e32 v94, 2, v124
	v_and_b32_e32 v133, 0xffff, v100
	v_and_b32_e32 v134, 0xffff, v101
	;; [unrolled: 1-line block ×4, first 2 shown]
	v_lshlrev_b32_e32 v96, 2, v125
	v_lshlrev_b32_e32 v97, 2, v126
	;; [unrolled: 1-line block ×3, first 2 shown]
	global_load_b32 v99, v99, s[8:9] offset:96
	v_lshlrev_b32_e32 v19, 2, v132
	v_lshlrev_b32_e32 v137, 2, v133
	v_lshlrev_b32_e32 v138, 2, v134
	v_lshlrev_b32_e32 v139, 2, v135
	v_lshlrev_b32_e32 v140, 2, v136
	s_clause 0x8
	global_load_b32 v100, v94, s[8:9] offset:96
	global_load_b32 v101, v96, s[8:9] offset:96
	;; [unrolled: 1-line block ×9, first 2 shown]
	v_cmp_lt_u32_e64 s1, 27, v10
	v_lshlrev_b32_e32 v95, 1, v95
	v_and_b32_e32 v105, 0xffff, v105
	v_and_b32_e32 v108, 0xffff, v108
	v_mul_u32_u24_e32 v138, 0x70, v111
	s_wait_alu 0xf1ff
	v_cndmask_b32_e64 v137, 0, 0x70, s1
	v_mul_u32_u24_e32 v141, 0x70, v122
	v_mul_u32_u24_e32 v105, 0x70, v105
	v_lshlrev_b32_e32 v107, 1, v107
	v_mul_u32_u24_e32 v109, 0x70, v109
	v_add3_u32 v95, 0, v137, v95
	v_mul_u32_u24_e32 v137, 0x70, v110
	v_lshlrev_b32_e32 v110, 1, v113
	v_lshlrev_b32_e32 v113, 1, v114
	;; [unrolled: 1-line block ×4, first 2 shown]
	v_mul_u32_u24_e32 v108, 0x70, v108
	v_add3_u32 v111, 0, v105, v107
	v_and_b32_e32 v98, 0xffff, v98
	v_mul_u32_u24_e32 v118, 0x70, v118
	v_add3_u32 v107, 0, v138, v115
	v_lshlrev_b32_e32 v115, 1, v126
	v_lshlrev_b32_e32 v116, 1, v117
	;; [unrolled: 1-line block ×3, first 2 shown]
	v_mul_u32_u24_e32 v119, 0x70, v119
	v_mul_u32_u24_e32 v140, 0x70, v120
	;; [unrolled: 1-line block ×4, first 2 shown]
	v_add3_u32 v110, 0, v108, v110
	v_add3_u32 v109, 0, v109, v113
	v_add3_u32 v108, 0, v137, v114
	v_lshlrev_b32_e32 v113, 1, v124
	v_lshlrev_b32_e32 v114, 1, v125
	v_lshlrev_b32_e32 v124, 1, v134
	v_mul_u32_u24_e32 v129, 0x70, v129
	v_lshlrev_b32_e32 v123, 1, v133
	v_mul_u32_u24_e32 v139, 0x70, v112
	v_mul_u32_u24_e32 v98, 0x70, v98
	;; [unrolled: 1-line block ×3, first 2 shown]
	v_lshlrev_b32_e32 v106, 1, v106
	v_add3_u32 v105, 0, v118, v117
	v_lshlrev_b32_e32 v117, 1, v132
	v_mul_u32_u24_e32 v131, 0x70, v131
	v_lshlrev_b32_e32 v125, 1, v135
	v_add3_u32 v120, 0, v119, v113
	v_add3_u32 v119, 0, v140, v114
	;; [unrolled: 1-line block ×7, first 2 shown]
	v_lshlrev_b32_e32 v116, 1, v127
	v_add3_u32 v117, 0, v128, v117
	v_lshl_add_u32 v98, v136, 1, 0
	v_add3_u32 v113, 0, v131, v125
	global_wb scope:SCOPE_SE
	s_wait_loadcnt_dscnt 0x0
	v_add3_u32 v116, 0, v141, v116
	s_barrier_signal -1
	s_barrier_wait -1
	global_inv scope:SCOPE_SE
	v_lshrrev_b32_e32 v122, 16, v90
	v_lshrrev_b32_e32 v130, 16, v91
	;; [unrolled: 1-line block ×5, first 2 shown]
	v_mul_f16_e32 v126, v83, v122
	v_lshrrev_b32_e32 v125, 16, v88
	v_lshrrev_b32_e32 v124, 16, v89
	v_mul_f16_e64 v139, v84, v130
	v_mul_f16_e64 v140, v85, v129
	v_fmac_f16_e32 v126, v34, v90
	v_mul_f16_e64 v141, v86, v128
	v_mul_f16_e64 v142, v78, v127
	;; [unrolled: 1-line block ×4, first 2 shown]
	v_sub_f16_e32 v121, v52, v126
	v_lshrrev_b32_e32 v126, 16, v87
	v_fmac_f16_e64 v139, v33, v91
	v_fmac_f16_e64 v140, v32, v92
	;; [unrolled: 1-line block ×3, first 2 shown]
	v_fma_f16 v138, v52, 2.0, -v121
	ds_store_b16 v95, v121 offset:56
	v_mul_f16_e64 v143, v79, v126
	v_fmac_f16_e64 v142, v30, v21
	v_fmac_f16_e64 v144, v26, v88
	ds_store_b16 v95, v138
	v_fmac_f16_e64 v145, v25, v89
	v_fmac_f16_e64 v143, v29, v87
	v_sub_f16_e64 v139, v35, v139
	v_sub_f16_e64 v140, v36, v140
	;; [unrolled: 1-line block ×7, first 2 shown]
	v_fma_f16 v35, v35, 2.0, -v139
	v_fma_f16 v36, v36, 2.0, -v140
	;; [unrolled: 1-line block ×7, first 2 shown]
	ds_store_b16 v112, v139 offset:56
	v_lshrrev_b32_e32 v137, 16, v100
	v_lshrrev_b32_e32 v136, 16, v101
	v_lshrrev_b32_e32 v123, 16, v99
	v_lshrrev_b32_e32 v135, 16, v102
	v_lshrrev_b32_e32 v134, 16, v103
	v_lshrrev_b32_e32 v133, 16, v104
	v_lshrrev_b32_e32 v132, 16, v19
	v_lshrrev_b32_e32 v131, 16, v96
	v_lshrrev_b32_e32 v52, 16, v97
	v_mul_f16_e64 v146, v82, v123
	v_mul_f16_e64 v138, v72, v137
	v_mul_f16_e64 v147, v73, v136
	v_mul_f16_e64 v148, v74, v135
	v_mul_f16_e64 v149, v75, v134
	v_mul_f16_e64 v150, v76, v133
	v_mul_f16_e64 v151, v70, v132
	v_mul_f16_e64 v152, v71, v131
	v_mul_f16_e64 v153, v77, v52
	v_fmac_f16_e64 v146, v27, v99
	v_fmac_f16_e64 v138, v8, v100
	;; [unrolled: 1-line block ×9, first 2 shown]
	v_lshrrev_b32_e32 v121, 16, v94
	v_sub_f16_e64 v146, v51, v146
	v_sub_f16_e64 v138, v42, v138
	;; [unrolled: 1-line block ×9, first 2 shown]
	v_fma_f16 v51, v51, 2.0, -v146
	v_fma_f16 v42, v42, 2.0, -v138
	;; [unrolled: 1-line block ×9, first 2 shown]
	ds_store_b16 v112, v35
	ds_store_b16 v111, v36
	ds_store_b16 v111, v140 offset:56
	ds_store_b16 v110, v37
	ds_store_b16 v110, v141 offset:56
	;; [unrolled: 2-line block ×7, first 2 shown]
	ds_store_b16 v120, v138 offset:56
	ds_store_b16 v120, v42
	ds_store_b16 v119, v43
	ds_store_b16 v119, v147 offset:56
	ds_store_b16 v118, v44
	ds_store_b16 v118, v148 offset:56
	;; [unrolled: 2-line block ×7, first 2 shown]
	s_and_saveexec_b32 s1, s0
	s_cbranch_execz .LBB0_25
; %bb.24:
	v_mul_f16_e32 v35, v20, v121
	s_delay_alu instid0(VALU_DEP_1) | instskip(NEXT) | instid1(VALU_DEP_1)
	v_fmac_f16_e32 v35, v18, v94
	v_sub_f16_e32 v35, v1, v35
	s_delay_alu instid0(VALU_DEP_1)
	v_fma_f16 v1, v1, 2.0, -v35
	ds_store_b16 v98, v1 offset:3808
	ds_store_b16 v98, v35 offset:3864
.LBB0_25:
	s_wait_alu 0xfffe
	s_or_b32 exec_lo, exec_lo, s1
	v_mul_f16_e32 v1, v34, v122
	v_mul_f16_e32 v25, v25, v124
	v_mul_f16_e64 v33, v33, v130
	v_mul_f16_e64 v32, v32, v129
	;; [unrolled: 1-line block ×3, first 2 shown]
	v_fma_f16 v1, v83, v90, -v1
	v_mul_f16_e32 v30, v30, v127
	v_mul_f16_e32 v29, v29, v126
	;; [unrolled: 1-line block ×4, first 2 shown]
	v_fma_f16 v25, v81, v89, -v25
	v_mul_f16_e64 v22, v22, v135
	v_mul_f16_e64 v23, v23, v134
	;; [unrolled: 1-line block ×5, first 2 shown]
	v_mul_f16_e32 v28, v28, v52
	v_fma_f16 v33, v84, v91, -v33
	v_fma_f16 v32, v85, v92, -v32
	;; [unrolled: 1-line block ×7, first 2 shown]
	v_mul_f16_e64 v8, v8, v137
	v_mul_f16_e64 v9, v9, v136
	v_fma_f16 v22, v74, v102, -v22
	v_fma_f16 v23, v75, v103, -v23
	;; [unrolled: 1-line block ×3, first 2 shown]
	v_sub_f16_e32 v40, v59, v1
	v_fma_f16 v1, v70, v19, -v2
	v_fma_f16 v2, v71, v96, -v3
	;; [unrolled: 1-line block ×3, first 2 shown]
	v_sub_f16_e32 v76, v53, v25
	v_fma_f16 v8, v72, v100, -v8
	v_fma_f16 v9, v73, v101, -v9
	v_sub_f16_e32 v72, v60, v33
	v_sub_f16_e32 v70, v54, v32
	;; [unrolled: 1-line block ×8, first 2 shown]
	v_fma_f16 v79, v53, 2.0, -v76
	v_sub_f16_e32 v80, v61, v23
	v_sub_f16_e32 v81, v62, v24
	;; [unrolled: 1-line block ×5, first 2 shown]
	global_wb scope:SCOPE_SE
	s_wait_dscnt 0x0
	s_barrier_signal -1
	s_barrier_wait -1
	global_inv scope:SCOPE_SE
	ds_load_u16 v41, v11 offset:3472
	ds_load_u16 v42, v11 offset:672
	;; [unrolled: 1-line block ×3, first 2 shown]
	ds_load_u16 v39, v11
	ds_load_u16 v38, v11 offset:112
	ds_load_u16 v3, v11 offset:224
	;; [unrolled: 1-line block ×31, first 2 shown]
	v_fma_f16 v59, v59, 2.0, -v40
	v_sub_f16_e32 v8, v66, v8
	v_sub_f16_e32 v9, v67, v9
	v_fma_f16 v60, v60, 2.0, -v72
	v_fma_f16 v54, v54, 2.0, -v70
	;; [unrolled: 1-line block ×15, first 2 shown]
	global_wb scope:SCOPE_SE
	s_wait_dscnt 0x0
	s_barrier_signal -1
	s_barrier_wait -1
	global_inv scope:SCOPE_SE
	ds_store_b16 v95, v59
	ds_store_b16 v95, v40 offset:56
	ds_store_b16 v112, v60
	ds_store_b16 v112, v72 offset:56
	;; [unrolled: 2-line block ×17, first 2 shown]
	s_and_saveexec_b32 s1, s0
	s_cbranch_execz .LBB0_27
; %bb.26:
	v_mul_f16_e32 v8, v18, v121
	s_delay_alu instid0(VALU_DEP_1) | instskip(NEXT) | instid1(VALU_DEP_1)
	v_fma_f16 v8, v20, v94, -v8
	v_sub_f16_e32 v8, v50, v8
	s_delay_alu instid0(VALU_DEP_1)
	v_fma_f16 v9, v50, 2.0, -v8
	ds_store_b16 v98, v9 offset:3808
	ds_store_b16 v98, v8 offset:3864
.LBB0_27:
	s_wait_alu 0xfffe
	s_or_b32 exec_lo, exec_lo, s1
	v_mul_u32_u24_e32 v8, 6, v10
	global_wb scope:SCOPE_SE
	s_wait_dscnt 0x0
	s_barrier_signal -1
	s_barrier_wait -1
	global_inv scope:SCOPE_SE
	v_lshlrev_b32_e32 v8, 2, v8
	v_lshrrev_b16 v9, 3, v15
	v_lshrrev_b16 v18, 3, v14
	s_clause 0x1
	global_load_b128 v[54:57], v8, s[8:9] offset:208
	global_load_b64 v[70:71], v8, s[8:9] offset:224
	v_lshrrev_b16 v8, 3, v13
	v_and_b32_e32 v9, 31, v9
	v_and_b32_e32 v18, 0xffff, v18
	s_delay_alu instid0(VALU_DEP_3) | instskip(NEXT) | instid1(VALU_DEP_3)
	v_and_b32_e32 v8, 31, v8
	v_mul_lo_u16 v9, v9, 37
	s_delay_alu instid0(VALU_DEP_3) | instskip(NEXT) | instid1(VALU_DEP_3)
	v_mul_u32_u24_e32 v18, 0x2493, v18
	v_mul_lo_u16 v8, v8, 37
	s_delay_alu instid0(VALU_DEP_3) | instskip(NEXT) | instid1(VALU_DEP_3)
	v_lshrrev_b16 v9, 8, v9
	v_lshrrev_b32_e32 v20, 16, v18
	s_delay_alu instid0(VALU_DEP_3) | instskip(NEXT) | instid1(VALU_DEP_3)
	v_lshrrev_b16 v8, 8, v8
	v_mul_lo_u16 v9, v9, 56
	s_delay_alu instid0(VALU_DEP_3) | instskip(NEXT) | instid1(VALU_DEP_3)
	v_mul_lo_u16 v20, v20, 56
	v_mul_lo_u16 v8, v8, 56
	s_delay_alu instid0(VALU_DEP_1) | instskip(NEXT) | instid1(VALU_DEP_1)
	v_sub_nc_u16 v8, v13, v8
	v_and_b32_e32 v18, 0xff, v8
	v_sub_nc_u16 v8, v15, v9
	s_delay_alu instid0(VALU_DEP_2) | instskip(NEXT) | instid1(VALU_DEP_2)
	v_mul_u32_u24_e32 v40, 6, v18
	v_and_b32_e32 v9, 0xff, v8
	v_sub_nc_u16 v8, v14, v20
	s_delay_alu instid0(VALU_DEP_3) | instskip(NEXT) | instid1(VALU_DEP_3)
	v_lshlrev_b32_e32 v20, 2, v40
	v_mul_u32_u24_e32 v40, 6, v9
	s_delay_alu instid0(VALU_DEP_3)
	v_and_b32_e32 v8, 0xffff, v8
	global_load_b128 v[58:61], v20, s[8:9] offset:208
	v_lshlrev_b32_e32 v40, 2, v40
	v_mul_u32_u24_e32 v50, 6, v8
	s_clause 0x1
	global_load_b64 v[72:73], v20, s[8:9] offset:224
	global_load_b128 v[62:65], v40, s[8:9] offset:208
	v_lshlrev_b32_e32 v20, 2, v50
	s_clause 0x2
	global_load_b64 v[74:75], v40, s[8:9] offset:224
	global_load_b128 v[66:69], v20, s[8:9] offset:208
	global_load_b64 v[76:77], v20, s[8:9] offset:224
	ds_load_u16 v50, v11 offset:3472
	ds_load_u16 v78, v11 offset:560
	;; [unrolled: 1-line block ×4, first 2 shown]
	ds_load_u16 v81, v11
	ds_load_u16 v82, v11 offset:112
	ds_load_u16 v83, v11 offset:224
	;; [unrolled: 1-line block ×30, first 2 shown]
	global_wb scope:SCOPE_SE
	s_wait_loadcnt_dscnt 0x0
	s_barrier_signal -1
	s_barrier_wait -1
	global_inv scope:SCOPE_SE
	v_lshrrev_b32_e32 v110, 16, v54
	v_lshrrev_b32_e32 v111, 16, v55
	;; [unrolled: 1-line block ×6, first 2 shown]
	v_mul_f16_e32 v116, v78, v110
	v_mul_f16_e32 v117, v48, v110
	;; [unrolled: 1-line block ×12, first 2 shown]
	v_mul_f16_e64 v128, v79, v110
	v_mul_f16_e32 v110, v42, v110
	v_mul_f16_e64 v129, v86, v111
	v_mul_f16_e32 v111, v43, v111
	;; [unrolled: 2-line block ×6, first 2 shown]
	v_fmac_f16_e32 v116, v48, v54
	v_fma_f16 v48, v78, v54, -v117
	v_fmac_f16_e32 v118, v52, v55
	v_fma_f16 v52, v85, v55, -v119
	;; [unrolled: 2-line block ×6, first 2 shown]
	v_fmac_f16_e64 v128, v42, v54
	v_fma_f16 v42, v79, v54, -v110
	v_fmac_f16_e64 v129, v43, v55
	v_fma_f16 v43, v86, v55, -v111
	;; [unrolled: 2-line block ×6, first 2 shown]
	v_add_f16_e32 v50, v116, v126
	v_add_f16_e32 v54, v48, v49
	v_sub_f16_e32 v55, v116, v126
	v_sub_f16_e32 v48, v48, v49
	v_add_f16_e32 v49, v118, v124
	v_add_f16_e32 v56, v52, v53
	v_sub_f16_e32 v57, v118, v124
	v_sub_f16_e32 v52, v52, v53
	;; [unrolled: 4-line block ×3, first 2 shown]
	v_add_f16_e64 v51, v128, v133
	v_add_f16_e32 v78, v42, v41
	v_sub_f16_e64 v79, v128, v133
	v_sub_f16_e32 v41, v42, v41
	v_add_f16_e64 v42, v129, v132
	v_add_f16_e32 v85, v43, v46
	v_sub_f16_e64 v86, v129, v132
	v_sub_f16_e32 v43, v43, v46
	;; [unrolled: 4-line block ×3, first 2 shown]
	v_add_f16_e32 v45, v49, v50
	v_add_f16_e32 v95, v56, v54
	v_sub_f16_e32 v96, v49, v50
	v_sub_f16_e32 v99, v56, v54
	;; [unrolled: 1-line block ×6, first 2 shown]
	v_add_f16_e32 v102, v71, v57
	v_add_f16_e32 v104, v47, v52
	v_sub_f16_e32 v110, v71, v57
	v_sub_f16_e32 v111, v47, v52
	;; [unrolled: 1-line block ×4, first 2 shown]
	v_add_f16_e32 v112, v42, v51
	v_add_f16_e32 v113, v85, v78
	v_sub_f16_e32 v114, v42, v51
	v_sub_f16_e32 v115, v85, v78
	;; [unrolled: 1-line block ×6, first 2 shown]
	v_add_f16_e32 v116, v92, v86
	v_add_f16_e32 v117, v44, v43
	v_sub_f16_e32 v118, v92, v86
	v_sub_f16_e32 v119, v44, v43
	;; [unrolled: 1-line block ×8, first 2 shown]
	v_add_f16_e32 v45, v53, v45
	v_add_f16_e32 v53, v70, v95
	;; [unrolled: 1-line block ×4, first 2 shown]
	v_mul_f16_e32 v50, 0x3a52, v50
	v_mul_f16_e32 v54, 0x3a52, v54
	;; [unrolled: 1-line block ×8, first 2 shown]
	v_add_f16_e32 v46, v46, v112
	v_add_f16_e32 v89, v89, v113
	;; [unrolled: 1-line block ×4, first 2 shown]
	v_mul_f16_e32 v112, 0x3a52, v51
	v_mul_f16_e32 v78, 0x3a52, v78
	v_mul_f16_e32 v113, 0x2b26, v42
	v_mul_f16_e32 v116, 0x2b26, v85
	v_mul_f16_e32 v117, 0x3846, v118
	v_mul_f16_e32 v118, 0x3846, v119
	v_mul_f16_e32 v119, 0xbb00, v86
	v_mul_f16_e32 v120, 0xbb00, v43
	v_add_f16_e32 v39, v39, v45
	v_add_f16_e32 v51, v81, v53
	v_fmamk_f16 v49, v49, 0x2b26, v50
	v_fmamk_f16 v56, v56, 0x2b26, v54
	v_fma_f16 v70, v96, 0x39e0, -v70
	v_fma_f16 v81, v99, 0x39e0, -v95
	;; [unrolled: 1-line block ×4, first 2 shown]
	v_fmamk_f16 v95, v71, 0xb574, v102
	v_fmamk_f16 v96, v47, 0xb574, v104
	v_fma_f16 v57, v57, 0xbb00, -v102
	v_fma_f16 v99, v52, 0xbb00, -v104
	;; [unrolled: 1-line block ×4, first 2 shown]
	v_add_f16_e32 v38, v38, v46
	v_add_f16_e32 v52, v82, v89
	v_fmamk_f16 v42, v42, 0x2b26, v112
	v_fmamk_f16 v82, v85, 0x2b26, v78
	v_fma_f16 v85, v114, 0x39e0, -v113
	v_fma_f16 v102, v115, 0x39e0, -v116
	;; [unrolled: 1-line block ×3, first 2 shown]
	v_fmamk_f16 v110, v92, 0xb574, v117
	v_fmamk_f16 v111, v44, 0xb574, v118
	v_fma_f16 v86, v86, 0xbb00, -v117
	v_fma_f16 v43, v43, 0xbb00, -v118
	;; [unrolled: 1-line block ×4, first 2 shown]
	v_lshrrev_b32_e32 v112, 16, v58
	v_lshrrev_b32_e32 v113, 16, v59
	;; [unrolled: 1-line block ×4, first 2 shown]
	v_fma_f16 v78, v115, 0xb9e0, -v78
	v_lshrrev_b32_e32 v114, 16, v60
	v_lshrrev_b32_e32 v115, 16, v61
	v_lshrrev_b32_e32 v119, 16, v63
	v_lshrrev_b32_e32 v120, 16, v64
	v_lshrrev_b32_e32 v124, 16, v66
	v_lshrrev_b32_e32 v127, 16, v69
	v_fmamk_f16 v45, v45, 0xbcab, v39
	v_fmamk_f16 v53, v53, 0xbcab, v51
	v_fmac_f16_e32 v95, 0xb70e, v55
	v_fmac_f16_e32 v96, 0xb70e, v48
	;; [unrolled: 1-line block ×6, first 2 shown]
	v_fmamk_f16 v46, v46, 0xbcab, v38
	v_fmamk_f16 v48, v89, 0xbcab, v52
	v_fmac_f16_e32 v110, 0xb70e, v79
	v_fmac_f16_e32 v111, 0xb70e, v41
	;; [unrolled: 1-line block ×6, first 2 shown]
	v_mul_f16_e32 v41, v80, v112
	v_mul_f16_e32 v55, v22, v112
	v_mul_f16_e32 v79, v87, v113
	v_mul_f16_e32 v89, v32, v113
	v_mul_f16_e64 v130, v97, v116
	v_mul_f16_e32 v116, v35, v116
	v_mul_f16_e64 v131, v107, v117
	v_mul_f16_e32 v117, v37, v117
	v_lshrrev_b32_e32 v122, 16, v74
	v_mul_f16_e32 v112, v90, v114
	v_mul_f16_e32 v113, v33, v114
	;; [unrolled: 1-line block ×4, first 2 shown]
	v_mul_f16_e64 v133, v88, v119
	v_mul_f16_e32 v119, v21, v119
	v_mul_f16_e64 v134, v91, v120
	v_mul_f16_e32 v120, v23, v120
	;; [unrolled: 2-line block ×4, first 2 shown]
	v_add_f16_e32 v49, v49, v45
	v_add_f16_e32 v56, v56, v53
	v_add_f16_e32 v70, v70, v45
	v_add_f16_e32 v81, v81, v53
	v_add_f16_e32 v45, v50, v45
	v_add_f16_e32 v50, v54, v53
	v_add_f16_e32 v42, v42, v46
	v_add_f16_e32 v53, v82, v48
	v_add_f16_e32 v54, v85, v46
	v_add_f16_e32 v82, v102, v48
	v_add_f16_e32 v46, v104, v46
	v_add_f16_e32 v48, v78, v48
	v_fmac_f16_e32 v41, v22, v58
	v_fma_f16 v22, v80, v58, -v55
	v_fmac_f16_e32 v79, v32, v59
	v_fma_f16 v32, v87, v59, -v89
	v_fmac_f16_e64 v130, v35, v72
	v_fma_f16 v35, v97, v72, -v116
	v_fmac_f16_e64 v131, v37, v73
	v_fma_f16 v37, v107, v73, -v117
	v_lshrrev_b32_e32 v123, 16, v75
	v_lshrrev_b32_e32 v128, 16, v76
	;; [unrolled: 1-line block ×3, first 2 shown]
	v_mul_f16_e64 v136, v98, v122
	v_mul_f16_e32 v122, v25, v122
	v_fmac_f16_e32 v112, v33, v60
	v_fma_f16 v33, v90, v60, -v113
	v_fmac_f16_e32 v114, v34, v61
	v_fma_f16 v34, v93, v61, -v115
	v_fmac_f16_e64 v133, v21, v63
	v_fma_f16 v21, v88, v63, -v119
	v_fmac_f16_e64 v134, v23, v64
	;; [unrolled: 2-line block ×4, first 2 shown]
	v_fma_f16 v31, v106, v69, -v127
	v_sub_f16_e32 v60, v50, v71
	v_sub_f16_e32 v61, v70, v99
	v_add_f16_e32 v63, v99, v70
	v_add_f16_e32 v64, v71, v50
	;; [unrolled: 1-line block ×3, first 2 shown]
	v_sub_f16_e32 v66, v48, v92
	v_sub_f16_e32 v44, v46, v44
	v_add_f16_e32 v69, v92, v48
	v_add_f16_e64 v46, v41, v131
	v_add_f16_e32 v48, v22, v37
	v_sub_f16_e32 v22, v22, v37
	v_add_f16_e64 v37, v79, v130
	v_add_f16_e32 v70, v32, v35
	v_lshrrev_b32_e32 v118, 16, v62
	v_mul_f16_e64 v137, v108, v123
	v_mul_f16_e32 v123, v36, v123
	v_mul_f16_e64 v142, v105, v128
	v_mul_f16_e64 v128, v27, v128
	;; [unrolled: 1-line block ×4, first 2 shown]
	v_fmac_f16_e64 v136, v25, v74
	v_fma_f16 v25, v98, v74, -v122
	v_sub_f16_e64 v41, v41, v131
	v_sub_f16_e64 v71, v79, v130
	v_sub_f16_e32 v32, v32, v35
	v_add_f16_e32 v35, v112, v114
	v_add_f16_e32 v72, v33, v34
	v_sub_f16_e32 v73, v114, v112
	v_sub_f16_e32 v33, v34, v33
	v_add_f16_e32 v34, v37, v46
	v_add_f16_e32 v74, v70, v48
	v_mul_f16_e64 v132, v84, v118
	v_mul_f16_e32 v118, v19, v118
	v_fmac_f16_e64 v137, v36, v75
	v_fma_f16 v36, v108, v75, -v123
	v_fmac_f16_e64 v142, v27, v76
	v_fma_f16 v27, v105, v76, -v128
	;; [unrolled: 2-line block ×3, first 2 shown]
	v_sub_f16_e32 v75, v37, v46
	v_sub_f16_e32 v76, v70, v48
	;; [unrolled: 1-line block ×6, first 2 shown]
	v_add_f16_e32 v77, v73, v71
	v_add_f16_e32 v78, v33, v32
	v_sub_f16_e32 v79, v73, v71
	v_sub_f16_e32 v80, v33, v32
	;; [unrolled: 1-line block ×3, first 2 shown]
	v_add_f16_e32 v34, v35, v34
	v_add_f16_e32 v35, v72, v74
	v_sub_f16_e32 v32, v32, v22
	v_fmac_f16_e64 v132, v19, v62
	v_fma_f16 v19, v84, v62, -v118
	v_add_f16_e32 v62, v57, v81
	v_sub_f16_e32 v57, v81, v57
	v_sub_f16_e32 v73, v41, v73
	;; [unrolled: 1-line block ×3, first 2 shown]
	v_add_f16_e32 v41, v77, v41
	v_add_f16_e32 v22, v78, v22
	;; [unrolled: 1-line block ×4, first 2 shown]
	v_mul_f16_e32 v46, 0x3a52, v46
	v_mul_f16_e32 v48, 0x3a52, v48
	;; [unrolled: 1-line block ×8, first 2 shown]
	v_lshrrev_b32_e32 v121, 16, v65
	v_fmamk_f16 v34, v34, 0xbcab, v3
	v_fmamk_f16 v35, v35, 0xbcab, v72
	v_fmamk_f16 v37, v37, 0x2b26, v46
	v_fmamk_f16 v70, v70, 0x2b26, v48
	v_fma_f16 v74, v75, 0x39e0, -v74
	v_fma_f16 v77, v76, 0x39e0, -v77
	;; [unrolled: 1-line block ×4, first 2 shown]
	v_fmamk_f16 v75, v73, 0xb574, v78
	v_fmamk_f16 v76, v33, 0xb574, v79
	v_fma_f16 v32, v32, 0xbb00, -v79
	v_fma_f16 v73, v73, 0x3574, -v80
	;; [unrolled: 1-line block ×3, first 2 shown]
	v_mul_f16_e64 v135, v94, v121
	v_mul_f16_e32 v121, v24, v121
	v_fma_f16 v71, v71, 0xbb00, -v78
	v_add_f16_e32 v37, v37, v34
	v_add_f16_e32 v70, v70, v35
	v_add_f16_e32 v74, v74, v34
	v_add_f16_e32 v77, v77, v35
	v_add_f16_e32 v34, v46, v34
	v_add_f16_e32 v35, v48, v35
	v_fmac_f16_e32 v76, 0xb70e, v22
	v_fmac_f16_e32 v33, 0xb70e, v22
	;; [unrolled: 1-line block ×4, first 2 shown]
	v_lshrrev_b32_e32 v125, 16, v67
	v_lshrrev_b32_e32 v126, 16, v68
	v_fmac_f16_e64 v135, v24, v65
	v_fma_f16 v24, v94, v65, -v121
	v_fmac_f16_e32 v75, 0xb70e, v41
	v_fmac_f16_e32 v71, 0xb70e, v41
	v_add_f16_e32 v22, v76, v37
	v_add_f16_e32 v41, v33, v34
	v_sub_f16_e32 v79, v35, v73
	v_sub_f16_e32 v46, v74, v32
	v_add_f16_e32 v32, v32, v74
	v_sub_f16_e32 v33, v34, v33
	v_add_f16_e32 v73, v73, v35
	v_sub_f16_e32 v34, v37, v76
	v_add_f16_e64 v35, v132, v137
	v_add_f16_e32 v37, v19, v36
	v_sub_f16_e32 v19, v19, v36
	v_add_f16_e64 v36, v133, v136
	v_add_f16_e32 v74, v21, v25
	v_mul_f16_e64 v139, v100, v125
	v_mul_f16_e32 v125, v26, v125
	v_mul_f16_e64 v140, v103, v126
	v_mul_f16_e32 v126, v28, v126
	v_sub_f16_e32 v78, v70, v75
	v_add_f16_e32 v80, v71, v77
	v_sub_f16_e32 v71, v77, v71
	v_add_f16_e32 v70, v75, v70
	v_sub_f16_e64 v48, v132, v137
	v_sub_f16_e64 v75, v133, v136
	v_sub_f16_e32 v21, v21, v25
	v_add_f16_e64 v25, v134, v135
	v_add_f16_e32 v76, v23, v24
	v_sub_f16_e64 v77, v135, v134
	v_sub_f16_e32 v23, v24, v23
	v_add_f16_e32 v24, v36, v35
	v_add_f16_e32 v81, v74, v37
	v_fmac_f16_e64 v139, v26, v67
	v_fma_f16 v26, v100, v67, -v125
	v_fmac_f16_e64 v140, v28, v68
	v_fma_f16 v28, v103, v68, -v126
	v_sub_f16_e32 v67, v54, v43
	v_add_f16_e32 v68, v86, v82
	v_add_f16_e32 v43, v43, v54
	v_sub_f16_e32 v54, v82, v86
	v_sub_f16_e32 v82, v36, v35
	;; [unrolled: 1-line block ×7, first 2 shown]
	v_add_f16_e32 v84, v77, v75
	v_add_f16_e32 v85, v23, v21
	v_sub_f16_e32 v86, v77, v75
	v_sub_f16_e32 v87, v23, v21
	;; [unrolled: 1-line block ×3, first 2 shown]
	v_add_f16_e32 v24, v25, v24
	v_add_f16_e32 v25, v76, v81
	v_sub_f16_e32 v21, v21, v19
	v_sub_f16_e32 v77, v48, v77
	;; [unrolled: 1-line block ×3, first 2 shown]
	v_add_f16_e32 v48, v84, v48
	v_add_f16_e32 v19, v85, v19
	;; [unrolled: 1-line block ×4, first 2 shown]
	v_mul_f16_e32 v35, 0x3a52, v35
	v_mul_f16_e32 v37, 0x3a52, v37
	;; [unrolled: 1-line block ×8, first 2 shown]
	v_fmamk_f16 v24, v24, 0xbcab, v2
	v_fmamk_f16 v25, v25, 0xbcab, v76
	;; [unrolled: 1-line block ×4, first 2 shown]
	v_fma_f16 v40, v82, 0x39e0, -v40
	v_fma_f16 v81, v83, 0x39e0, -v81
	;; [unrolled: 1-line block ×4, first 2 shown]
	v_fmamk_f16 v82, v77, 0xb574, v84
	v_fmamk_f16 v83, v23, 0xb574, v85
	v_fma_f16 v77, v77, 0x3574, -v86
	v_fma_f16 v23, v23, 0x3574, -v87
	;; [unrolled: 1-line block ×4, first 2 shown]
	v_add_f16_e32 v36, v36, v24
	v_add_f16_e32 v74, v74, v25
	;; [unrolled: 1-line block ×6, first 2 shown]
	v_fmac_f16_e32 v83, 0xb70e, v19
	v_fmac_f16_e32 v23, 0xb70e, v19
	;; [unrolled: 1-line block ×6, first 2 shown]
	v_add_f16_e32 v19, v83, v36
	v_add_f16_e32 v35, v23, v24
	v_sub_f16_e32 v85, v25, v77
	v_sub_f16_e32 v23, v24, v23
	v_add_f16_e32 v77, v77, v25
	v_sub_f16_e32 v24, v36, v83
	v_add_f16_e64 v25, v138, v143
	v_add_f16_e32 v36, v29, v30
	v_sub_f16_e32 v29, v29, v30
	v_add_f16_e64 v30, v139, v142
	v_add_f16_e32 v48, v26, v27
	v_sub_f16_e32 v84, v74, v82
	v_sub_f16_e32 v37, v40, v21
	v_add_f16_e32 v86, v75, v81
	v_add_f16_e32 v21, v21, v40
	v_sub_f16_e32 v75, v81, v75
	v_add_f16_e32 v74, v82, v74
	v_sub_f16_e64 v40, v138, v143
	v_sub_f16_e64 v81, v139, v142
	v_sub_f16_e32 v26, v26, v27
	v_add_f16_e64 v27, v140, v141
	v_add_f16_e32 v82, v28, v31
	v_sub_f16_e64 v83, v141, v140
	v_sub_f16_e32 v28, v31, v28
	v_add_f16_e32 v31, v30, v25
	v_add_f16_e32 v87, v48, v36
	v_sub_f16_e32 v88, v30, v25
	v_sub_f16_e32 v89, v48, v36
	v_sub_f16_e32 v25, v25, v27
	v_sub_f16_e32 v36, v36, v82
	v_sub_f16_e32 v30, v27, v30
	v_sub_f16_e32 v48, v82, v48
	v_add_f16_e32 v90, v83, v81
	v_add_f16_e32 v91, v28, v26
	v_sub_f16_e32 v92, v83, v81
	v_sub_f16_e32 v93, v28, v26
	v_sub_f16_e32 v81, v81, v40
	v_add_f16_e32 v27, v27, v31
	v_add_f16_e32 v31, v82, v87
	v_sub_f16_e32 v26, v26, v29
	v_sub_f16_e32 v83, v40, v83
	;; [unrolled: 1-line block ×3, first 2 shown]
	v_add_f16_e32 v40, v90, v40
	v_add_f16_e32 v29, v91, v29
	;; [unrolled: 1-line block ×4, first 2 shown]
	v_mul_f16_e32 v20, 0x3a52, v25
	v_mul_f16_e32 v25, 0x3a52, v36
	;; [unrolled: 1-line block ×8, first 2 shown]
	v_fmamk_f16 v27, v27, 0xbcab, v1
	v_fmamk_f16 v31, v31, 0xbcab, v82
	;; [unrolled: 1-line block ×4, first 2 shown]
	v_fma_f16 v36, v88, 0x39e0, -v36
	v_fma_f16 v87, v89, 0x39e0, -v87
	;; [unrolled: 1-line block ×4, first 2 shown]
	v_fmamk_f16 v88, v83, 0xb574, v90
	v_fmamk_f16 v89, v28, 0xb574, v91
	v_fma_f16 v26, v26, 0xbb00, -v91
	v_fma_f16 v83, v83, 0x3574, -v92
	v_fma_f16 v28, v28, 0x3574, -v93
	v_fma_f16 v81, v81, 0xbb00, -v90
	v_add_f16_e32 v55, v96, v49
	v_add_f16_e32 v59, v47, v45
	;; [unrolled: 1-line block ×6, first 2 shown]
	v_fmac_f16_e32 v89, 0xb70e, v29
	v_fmac_f16_e32 v28, 0xb70e, v29
	;; [unrolled: 1-line block ×4, first 2 shown]
	v_sub_f16_e32 v45, v45, v47
	v_sub_f16_e32 v47, v49, v96
	v_add_f16_e32 v49, v111, v42
	v_add_f16_e32 v48, v48, v31
	v_add_f16_e32 v87, v87, v31
	v_fmac_f16_e32 v88, 0xb70e, v40
	v_fmac_f16_e32 v81, 0xb70e, v40
	ds_store_b16 v11, v39
	ds_store_b16 v11, v55 offset:112
	ds_store_b16 v11, v59 offset:224
	;; [unrolled: 1-line block ×7, first 2 shown]
	ds_store_b16 v0, v49
	v_lshl_add_u32 v55, v18, 1, 0
	v_lshl_add_u32 v59, v9, 1, 0
	v_sub_f16_e32 v42, v42, v111
	v_add_f16_e32 v27, v89, v30
	v_add_f16_e32 v29, v28, v20
	v_sub_f16_e32 v91, v25, v83
	v_sub_f16_e32 v31, v36, v26
	v_add_f16_e32 v26, v26, v36
	v_sub_f16_e32 v20, v20, v28
	v_add_f16_e32 v83, v83, v25
	v_sub_f16_e32 v25, v30, v89
	v_sub_f16_e32 v90, v48, v88
	v_add_f16_e32 v92, v81, v87
	v_sub_f16_e32 v81, v87, v81
	v_add_f16_e32 v87, v88, v48
	ds_store_b16 v11, v50 offset:1008
	ds_store_b16 v11, v67 offset:1120
	;; [unrolled: 1-line block ×13, first 2 shown]
	v_lshl_add_u32 v2, v8, 1, 0
	ds_store_b16 v59, v19 offset:2464
	ds_store_b16 v59, v35 offset:2576
	;; [unrolled: 1-line block ×13, first 2 shown]
	global_wb scope:SCOPE_SE
	s_wait_dscnt 0x0
	s_barrier_signal -1
	s_barrier_wait -1
	global_inv scope:SCOPE_SE
	ds_load_u16 v22, v11 offset:1680
	ds_load_u16 v23, v11 offset:2464
	;; [unrolled: 1-line block ×6, first 2 shown]
	ds_load_u16 v8, v11
	ds_load_u16 v21, v11 offset:112
	ds_load_u16 v26, v11 offset:224
	;; [unrolled: 1-line block ×28, first 2 shown]
	v_sub_f16_e32 v58, v56, v95
	v_add_f16_e32 v56, v95, v56
	v_sub_f16_e32 v65, v53, v110
	v_add_f16_e32 v53, v110, v53
	global_wb scope:SCOPE_SE
	s_wait_dscnt 0x0
	s_barrier_signal -1
	s_barrier_wait -1
	global_inv scope:SCOPE_SE
	ds_store_b16 v11, v51
	ds_store_b16 v11, v58 offset:112
	ds_store_b16 v11, v60 offset:224
	;; [unrolled: 1-line block ×7, first 2 shown]
	ds_store_b16 v0, v65
	ds_store_b16 v11, v66 offset:1008
	ds_store_b16 v11, v68 offset:1120
	ds_store_b16 v11, v54 offset:1232
	ds_store_b16 v11, v69 offset:1344
	ds_store_b16 v11, v53 offset:1456
	ds_store_b16 v55, v72 offset:1568
	ds_store_b16 v55, v78 offset:1680
	ds_store_b16 v55, v79 offset:1792
	ds_store_b16 v55, v80 offset:1904
	ds_store_b16 v55, v71 offset:2016
	ds_store_b16 v55, v73 offset:2128
	ds_store_b16 v55, v70 offset:2240
	ds_store_b16 v59, v76 offset:2352
	ds_store_b16 v59, v84 offset:2464
	ds_store_b16 v59, v85 offset:2576
	ds_store_b16 v59, v86 offset:2688
	ds_store_b16 v59, v75 offset:2800
	ds_store_b16 v59, v77 offset:2912
	ds_store_b16 v59, v74 offset:3024
	ds_store_b16 v2, v82 offset:3136
	ds_store_b16 v2, v90 offset:3248
	ds_store_b16 v2, v91 offset:3360
	ds_store_b16 v2, v92 offset:3472
	ds_store_b16 v2, v81 offset:3584
	ds_store_b16 v2, v83 offset:3696
	ds_store_b16 v2, v87 offset:3808
	global_wb scope:SCOPE_SE
	s_wait_dscnt 0x0
	s_barrier_signal -1
	s_barrier_wait -1
	global_inv scope:SCOPE_SE
	s_and_saveexec_b32 s0, vcc_lo
	s_cbranch_execz .LBB0_29
; %bb.28:
	v_dual_mov_b32 v1, 0 :: v_dual_lshlrev_b32 v0, 2, v17
	v_lshlrev_b32_e32 v51, 2, v15
	v_lshlrev_b32_e32 v15, 2, v16
	;; [unrolled: 1-line block ×3, first 2 shown]
	s_delay_alu instid0(VALU_DEP_4)
	v_dual_mov_b32 v61, v1 :: v_dual_lshlrev_b32 v12, 2, v12
	v_lshlrev_b64_e32 v[2:3], 2, v[0:1]
	v_mov_b32_e32 v16, v1
	v_mov_b32_e32 v54, v1
	;; [unrolled: 1-line block ×3, first 2 shown]
	v_mul_lo_u32 v74, s3, v6
	v_mul_lo_u32 v75, s2, v7
	v_add_co_u32 v2, vcc_lo, s8, v2
	s_wait_alu 0xfffd
	v_add_co_ci_u32_e32 v3, vcc_lo, s9, v3, vcc_lo
	v_lshlrev_b64_e32 v[55:56], 2, v[15:16]
	v_lshlrev_b64_e32 v[57:58], 2, v[51:52]
	;; [unrolled: 1-line block ×3, first 2 shown]
	global_load_b128 v[14:17], v[2:3], off offset:1552
	v_lshlrev_b64_e32 v[2:3], 2, v[53:54]
	v_add_co_u32 v51, vcc_lo, s8, v55
	s_wait_alu 0xfffd
	v_add_co_ci_u32_e32 v52, vcc_lo, s9, v56, vcc_lo
	s_delay_alu instid0(VALU_DEP_3)
	v_add_co_u32 v2, vcc_lo, s8, v2
	s_wait_alu 0xfffd
	v_add_co_ci_u32_e32 v3, vcc_lo, s9, v3, vcc_lo
	v_add_co_u32 v59, vcc_lo, s8, v57
	s_wait_alu 0xfffd
	v_add_co_ci_u32_e32 v60, vcc_lo, s9, v58, vcc_lo
	s_clause 0x2
	global_load_b128 v[51:54], v[51:52], off offset:1552
	global_load_b128 v[55:58], v[2:3], off offset:1552
	;; [unrolled: 1-line block ×3, first 2 shown]
	v_dual_mov_b32 v13, v1 :: v_dual_lshlrev_b32 v60, 2, v13
	v_mad_co_u64_u32 v[2:3], null, s2, v6, 0
	ds_load_u16 v82, v11 offset:1456
	ds_load_u16 v83, v11 offset:3808
	;; [unrolled: 1-line block ×8, first 2 shown]
	v_lshlrev_b64_e32 v[6:7], 2, v[60:61]
	ds_load_u16 v87, v11 offset:3024
	ds_load_u16 v88, v11 offset:2912
	;; [unrolled: 1-line block ×18, first 2 shown]
	v_lshlrev_b64_e32 v[12:13], 2, v[12:13]
	v_add3_u32 v3, v3, v75, v74
	v_add_co_u32 v6, vcc_lo, s8, v6
	s_wait_alu 0xfffd
	v_add_co_ci_u32_e32 v7, vcc_lo, s9, v7, vcc_lo
	s_delay_alu instid0(VALU_DEP_4)
	v_add_co_u32 v12, vcc_lo, s8, v12
	s_wait_alu 0xfffd
	v_add_co_ci_u32_e32 v13, vcc_lo, s9, v13, vcc_lo
	global_load_b128 v[70:73], v[6:7], off offset:1552
	ds_load_u16 v102, v11 offset:1680
	ds_load_u16 v103, v11 offset:1568
	v_dual_mov_b32 v60, v1 :: v_dual_lshlrev_b32 v59, 2, v10
	global_load_b128 v[74:77], v[12:13], off offset:1552
	ds_load_u16 v106, v11 offset:1344
	v_lshlrev_b64_e32 v[2:3], 2, v[2:3]
	ds_load_u16 v121, v11 offset:1008
	v_lshlrev_b64_e32 v[6:7], 2, v[59:60]
	s_delay_alu instid0(VALU_DEP_1) | instskip(SKIP_1) | instid1(VALU_DEP_2)
	v_add_co_u32 v6, vcc_lo, s8, v6
	s_wait_alu 0xfffd
	v_add_co_ci_u32_e32 v7, vcc_lo, s9, v7, vcc_lo
	v_add_co_u32 v2, vcc_lo, s6, v2
	s_wait_alu 0xfffd
	v_add_co_ci_u32_e32 v3, vcc_lo, s7, v3, vcc_lo
	global_load_b128 v[78:81], v[6:7], off offset:1552
	s_wait_loadcnt 0x6
	v_lshrrev_b32_e32 v12, 16, v14
	v_lshrrev_b32_e32 v13, 16, v15
	;; [unrolled: 1-line block ×4, first 2 shown]
	s_delay_alu instid0(VALU_DEP_4) | instskip(NEXT) | instid1(VALU_DEP_4)
	v_mul_f16_e32 v6, v47, v12
	v_mul_f16_e32 v7, v48, v13
	s_delay_alu instid0(VALU_DEP_4) | instskip(NEXT) | instid1(VALU_DEP_4)
	v_mul_f16_e32 v104, v50, v59
	v_mul_f16_e32 v105, v49, v60
	s_wait_dscnt 0x15
	v_mul_f16_e32 v60, v87, v60
	v_mul_f16_e32 v12, v82, v12
	;; [unrolled: 1-line block ×3, first 2 shown]
	s_wait_dscnt 0xe
	v_mul_f16_e32 v107, v61, v13
	v_fma_f16 v6, v14, v82, -v6
	v_fma_f16 v61, v15, v61, -v7
	ds_load_u16 v7, v11 offset:1232
	v_fma_f16 v82, v17, v83, -v104
	v_fma_f16 v83, v16, v87, -v105
	v_fmac_f16_e32 v60, v49, v16
	ds_load_u16 v16, v11 offset:1120
	s_wait_loadcnt 0x5
	v_lshrrev_b32_e32 v13, 16, v51
	v_lshrrev_b32_e32 v108, 16, v52
	;; [unrolled: 1-line block ×3, first 2 shown]
	s_wait_loadcnt 0x4
	v_lshrrev_b32_e32 v111, 16, v55
	v_lshrrev_b32_e32 v112, 16, v56
	;; [unrolled: 1-line block ×3, first 2 shown]
	v_fmac_f16_e32 v107, v48, v15
	v_lshrrev_b32_e32 v109, 16, v53
	v_lshrrev_b32_e32 v113, 16, v57
	s_wait_loadcnt 0x3
	v_lshrrev_b32_e32 v115, 16, v66
	v_lshrrev_b32_e32 v116, 16, v67
	;; [unrolled: 1-line block ×3, first 2 shown]
	v_fmac_f16_e32 v12, v47, v14
	v_fmac_f16_e32 v59, v50, v17
	v_mul_f16_e32 v14, v42, v13
	v_mul_f16_e32 v15, v43, v108
	s_wait_dscnt 0x3
	v_mul_f16_e32 v48, v106, v13
	v_mul_f16_e32 v87, v84, v110
	;; [unrolled: 1-line block ×6, first 2 shown]
	v_add_f16_e64 v129, v107, v60
	v_lshrrev_b32_e32 v118, 16, v69
	v_mul_f16_e32 v17, v46, v110
	v_mul_f16_e32 v47, v44, v109
	;; [unrolled: 1-line block ×4, first 2 shown]
	s_wait_dscnt 0x1
	v_mul_f16_e32 v109, v7, v111
	v_mul_f16_e32 v110, v85, v114
	;; [unrolled: 1-line block ×7, first 2 shown]
	s_wait_dscnt 0x0
	v_mul_f16_e32 v115, v16, v115
	v_sub_f16_e32 v127, v12, v107
	v_sub_f16_e64 v128, v59, v60
	v_sub_f16_e64 v130, v6, v82
	v_fma_f16 v93, v52, v93, -v15
	v_fmac_f16_e32 v87, v46, v54
	v_fmac_f16_e32 v49, v43, v52
	v_fma_f16 v15, v55, v7, -v13
	v_fma_f16 v46, v56, v94, -v104
	;; [unrolled: 1-line block ×3, first 2 shown]
	v_fma_f16 v13, -0.5, v129, v36
	v_mul_f16_e32 v119, v34, v118
	v_mul_f16_e32 v118, v86, v118
	v_sub_f16_e64 v131, v61, v83
	v_add_f16_e64 v134, v6, v82
	v_add_f16_e64 v137, v12, v59
	;; [unrolled: 1-line block ×3, first 2 shown]
	v_fma_f16 v14, v51, v106, -v14
	v_fma_f16 v84, v54, v84, -v17
	;; [unrolled: 1-line block ×3, first 2 shown]
	v_fmac_f16_e32 v48, v42, v51
	v_fma_f16 v51, v57, v89, -v108
	v_fmac_f16_e32 v112, v41, v57
	v_fma_f16 v85, v66, v16, -v113
	v_fma_f16 v88, v67, v95, -v114
	;; [unrolled: 1-line block ×3, first 2 shown]
	v_fmac_f16_e32 v115, v35, v66
	v_add_f16_e64 v66, v127, v128
	v_sub_f16_e32 v57, v15, v46
	v_sub_f16_e32 v108, v15, v52
	;; [unrolled: 1-line block ×3, first 2 shown]
	v_add_f16_e32 v120, v15, v52
	v_add_f16_e32 v127, v15, v99
	v_fma_f16 v15, 0x3b9c, v130, v13
	v_fmac_f16_e64 v13, 0xbb9c, v130
	v_mul_f16_e32 v116, v95, v116
	v_mul_f16_e32 v117, v90, v117
	v_sub_f16_e32 v122, v6, v61
	v_add_f16_e32 v124, v61, v83
	v_sub_f16_e32 v126, v107, v60
	v_sub_f16_e64 v132, v61, v6
	v_add_f16_e64 v139, v36, v12
	v_fmac_f16_e32 v50, v44, v53
	v_fmac_f16_e32 v109, v39, v55
	;; [unrolled: 1-line block ×5, first 2 shown]
	v_fma_f16 v6, -0.5, v134, v97
	v_fma_f16 v7, -0.5, v137, v36
	v_add_f16_e64 v34, v61, v138
	v_add_f16_e32 v44, v14, v84
	v_add_f16_e32 v56, v14, v98
	v_fmac_f16_e64 v15, 0x38b4, v131
	v_fmac_f16_e64 v13, 0xb8b4, v131
	v_sub_f16_e32 v123, v82, v83
	v_sub_f16_e32 v125, v12, v59
	v_sub_f16_e64 v133, v83, v82
	v_sub_f16_e64 v135, v107, v12
	;; [unrolled: 1-line block ×3, first 2 shown]
	v_fma_f16 v86, v69, v86, -v119
	v_fmac_f16_e32 v116, v37, v67
	v_fmac_f16_e32 v117, v38, v68
	v_fma_f16 v12, -0.5, v124, v97
	v_add_f16_e64 v35, v139, v107
	v_sub_f16_e32 v36, v14, v93
	v_sub_f16_e32 v37, v84, v47
	v_add_f16_e32 v38, v93, v47
	v_sub_f16_e32 v69, v48, v87
	v_sub_f16_e32 v90, v49, v50
	;; [unrolled: 1-line block ×9, first 2 shown]
	v_add_f16_e32 v55, v48, v87
	v_add_f16_e32 v48, v33, v48
	;; [unrolled: 1-line block ×4, first 2 shown]
	v_fmamk_f16 v16, v126, 0x3b9c, v6
	v_fma_f16 v17, 0xbb9c, v131, v7
	v_fmac_f16_e32 v6, 0xbb9c, v126
	v_fmac_f16_e64 v7, 0x3b9c, v131
	v_add_f16_e32 v83, v83, v34
	v_fma_f16 v34, -0.5, v44, v98
	v_add_f16_e32 v93, v93, v56
	v_fmac_f16_e32 v15, 0x34f2, v66
	v_fmac_f16_e32 v13, 0x34f2, v66
	v_add_f16_e32 v66, v85, v100
	v_add_f16_e32 v53, v122, v123
	v_add_f16_e64 v67, v132, v133
	v_add_f16_e64 v68, v135, v136
	v_sub_f16_e32 v97, v109, v110
	v_sub_f16_e32 v105, v109, v111
	;; [unrolled: 1-line block ×3, first 2 shown]
	v_add_f16_e32 v109, v32, v109
	v_add_f16_e64 v146, v36, v37
	v_fma_f16 v36, -0.5, v38, v98
	v_add_f16_e64 v147, v39, v40
	v_add_f16_e64 v148, v42, v43
	v_add_f16_e32 v98, v45, v54
	v_add_f16_e32 v48, v48, v49
	v_fma_f16 v45, -0.5, v107, v32
	v_fma_f16 v43, -0.5, v124, v32
	v_fmac_f16_e32 v16, 0xb8b4, v125
	v_fmac_f16_e64 v17, 0x38b4, v130
	v_fmac_f16_e32 v6, 0x38b4, v125
	v_fmac_f16_e64 v7, 0xb8b4, v130
	v_add_f16_e32 v32, v82, v83
	v_fmamk_f16 v40, v90, 0x3b9c, v34
	v_fmac_f16_e32 v34, 0xbb9c, v90
	v_add_f16_e32 v82, v47, v93
	v_add_f16_e32 v66, v88, v66
	;; [unrolled: 1-line block ×3, first 2 shown]
	v_sub_f16_e32 v58, v52, v51
	v_add_f16_e64 v137, v116, v117
	v_add_f16_e64 v145, v115, v118
	v_fmamk_f16 v38, v69, 0xbb9c, v36
	v_fmac_f16_e32 v36, 0x3b9c, v69
	v_add_f16_e32 v83, v48, v50
	v_fmac_f16_e32 v16, 0x34f2, v67
	v_fmac_f16_e32 v17, 0x34f2, v68
	v_fmac_f16_e32 v6, 0x34f2, v67
	v_fmac_f16_e32 v7, 0x34f2, v68
	v_fmac_f16_e32 v40, 0xb8b4, v69
	v_fmac_f16_e32 v34, 0x38b4, v69
	v_add_f16_e32 v50, v84, v82
	v_add_f16_e32 v66, v89, v66
	;; [unrolled: 1-line block ×3, first 2 shown]
	s_wait_loadcnt 0x2
	v_lshrrev_b32_e32 v68, 16, v71
	v_lshrrev_b32_e32 v69, 16, v73
	;; [unrolled: 1-line block ×3, first 2 shown]
	v_sub_f16_e32 v94, v14, v84
	v_sub_f16_e64 v128, v85, v88
	v_sub_f16_e64 v129, v86, v89
	;; [unrolled: 1-line block ×5, first 2 shown]
	v_add_f16_e64 v142, v85, v86
	v_add_f16_e32 v60, v35, v60
	v_fma_f16 v35, -0.5, v55, v33
	v_add_f16_e64 v149, v57, v58
	v_add_f16_e32 v58, v46, v127
	v_fma_f16 v57, -0.5, v137, v31
	v_fma_f16 v55, -0.5, v145, v31
	v_add_f16_e32 v31, v86, v66
	v_add_f16_e32 v66, v67, v116
	v_lshrrev_b32_e32 v67, 16, v70
	v_mul_f16_e32 v84, v30, v68
	v_mul_f16_e32 v85, v28, v69
	v_mul_f16_e32 v86, v27, v82
	v_add_f16_e32 v61, v46, v51
	v_sub_f16_e32 v113, v46, v51
	v_sub_f16_e32 v119, v51, v52
	v_add_f16_e32 v93, v51, v58
	v_add_f16_e32 v51, v87, v83
	v_mul_f16_e32 v83, v29, v67
	ds_load_u16 v87, v11 offset:896
	v_fma_f16 v84, v71, v96, -v84
	v_fma_f16 v85, v73, v0, -v85
	;; [unrolled: 1-line block ×3, first 2 shown]
	v_mul_f16_e32 v67, v121, v67
	v_mul_f16_e32 v0, v0, v69
	;; [unrolled: 1-line block ×4, first 2 shown]
	v_fma_f16 v37, -0.5, v41, v33
	v_fmamk_f16 v41, v95, 0xbb9c, v35
	v_fmac_f16_e32 v35, 0x3b9c, v95
	v_fma_f16 v83, v70, v121, -v83
	v_add_f16_e32 v82, v84, v86
	v_fmac_f16_e32 v67, v29, v70
	v_fmac_f16_e32 v0, v28, v73
	ds_load_u16 v28, v11 offset:112
	v_fmac_f16_e32 v68, v30, v71
	v_fmac_f16_e32 v69, v27, v72
	v_sub_f16_e32 v104, v111, v112
	v_add_f16_e64 v132, v88, v89
	v_sub_f16_e64 v139, v88, v89
	v_fma_f16 v42, -0.5, v120, v99
	v_fmamk_f16 v39, v94, 0x3b9c, v37
	v_fmac_f16_e32 v37, 0xbb9c, v94
	v_fmac_f16_e32 v41, 0x38b4, v94
	;; [unrolled: 1-line block ×3, first 2 shown]
	v_fma_f16 v29, -0.5, v82, v101
	v_sub_f16_e32 v70, v83, v84
	v_sub_f16_e32 v71, v85, v86
	v_add_f16_e32 v72, v68, v69
	v_add_f16_e32 v82, v83, v85
	v_sub_f16_e32 v88, v67, v68
	v_sub_f16_e32 v89, v0, v69
	v_add_f16_e32 v94, v67, v0
	v_fma_f16 v44, -0.5, v61, v99
	v_fmamk_f16 v48, v104, 0x3b9c, v42
	v_fmac_f16_e32 v42, 0xbb9c, v104
	v_add_f16_e32 v66, v66, v117
	v_sub_f16_e32 v30, v67, v0
	v_sub_f16_e32 v73, v68, v69
	v_add_f16_e32 v70, v70, v71
	v_fma_f16 v71, -0.5, v72, v26
	v_sub_f16_e32 v72, v83, v85
	v_fma_f16 v82, -0.5, v82, v101
	v_sub_f16_e32 v91, v84, v86
	v_add_f16_e32 v88, v88, v89
	v_fma_f16 v89, -0.5, v94, v26
	v_fmamk_f16 v46, v97, 0xbb9c, v44
	v_fmac_f16_e32 v44, 0x3b9c, v97
	v_fmac_f16_e32 v38, 0xb8b4, v90
	;; [unrolled: 1-line block ×5, first 2 shown]
	v_add_f16_e32 v27, v118, v66
	v_fmamk_f16 v66, v30, 0xbb9c, v29
	v_fmamk_f16 v90, v72, 0x3b9c, v71
	;; [unrolled: 1-line block ×4, first 2 shown]
	v_fmac_f16_e32 v82, 0xbb9c, v73
	v_fmac_f16_e32 v89, 0x3b9c, v91
	;; [unrolled: 1-line block ×4, first 2 shown]
	v_add_f16_e32 v52, v52, v93
	v_fmac_f16_e32 v66, 0xb8b4, v73
	v_sub_f16_e32 v93, v84, v83
	v_fmac_f16_e32 v90, 0x38b4, v91
	v_fmac_f16_e32 v96, 0xb8b4, v30
	;; [unrolled: 1-line block ×7, first 2 shown]
	v_add_f16_e32 v30, v83, v101
	s_wait_loadcnt 0x1
	v_lshrrev_b32_e32 v72, 16, v75
	v_lshrrev_b32_e32 v73, 16, v77
	;; [unrolled: 1-line block ×3, first 2 shown]
	v_add_f16_e32 v26, v26, v67
	v_fmac_f16_e32 v39, 0x38b4, v95
	v_fmac_f16_e32 v37, 0xb8b4, v95
	v_sub_f16_e32 v95, v86, v85
	v_fmac_f16_e32 v66, 0x34f2, v70
	v_fmac_f16_e32 v90, 0x34f2, v88
	;; [unrolled: 1-line block ×4, first 2 shown]
	v_add_f16_e32 v30, v84, v30
	v_lshrrev_b32_e32 v70, 16, v74
	v_mul_f16_e32 v84, v22, v72
	v_mul_f16_e32 v88, v24, v73
	;; [unrolled: 1-line block ×3, first 2 shown]
	v_add_f16_e32 v26, v26, v68
	v_add_f16_e32 v93, v93, v95
	v_sub_f16_e32 v94, v68, v67
	v_sub_f16_e32 v95, v69, v0
	v_mul_f16_e32 v67, v25, v70
	v_fma_f16 v68, v75, v102, -v84
	v_fma_f16 v84, v77, v62, -v88
	;; [unrolled: 1-line block ×3, first 2 shown]
	v_add_f16_e32 v26, v26, v69
	s_wait_dscnt 0x1
	v_mul_f16_e32 v69, v87, v70
	v_mul_f16_e32 v62, v62, v73
	v_fma_f16 v67, v74, v87, -v67
	v_add_f16_e32 v73, v68, v88
	v_add_f16_e32 v30, v86, v30
	v_fmac_f16_e32 v69, v25, v74
	v_mul_f16_e32 v25, v102, v72
	v_mul_f16_e32 v72, v92, v83
	v_fmac_f16_e32 v62, v24, v77
	v_sub_f16_e32 v70, v67, v68
	v_sub_f16_e32 v86, v84, v88
	s_wait_dscnt 0x0
	v_fma_f16 v24, -0.5, v73, v28
	v_fmac_f16_e32 v25, v22, v75
	v_fmac_f16_e32 v72, v23, v76
	v_sub_f16_e32 v22, v69, v62
	v_add_f16_e32 v77, v67, v84
	v_add_f16_e32 v26, v0, v26
	;; [unrolled: 1-line block ×3, first 2 shown]
	v_sub_f16_e32 v73, v25, v72
	v_fmamk_f16 v70, v22, 0xbb9c, v24
	v_sub_f16_e32 v74, v69, v25
	v_sub_f16_e32 v75, v62, v72
	v_fma_f16 v77, -0.5, v77, v28
	v_fmac_f16_e32 v24, 0x3b9c, v22
	v_add_f16_e32 v23, v25, v72
	v_fmac_f16_e32 v70, 0xb8b4, v73
	v_add_f16_e32 v74, v74, v75
	v_add_f16_e32 v75, v69, v62
	v_fmamk_f16 v91, v73, 0x3b9c, v77
	v_fmac_f16_e32 v77, 0xbb9c, v73
	v_add_f16_e32 v28, v67, v28
	v_fmac_f16_e32 v24, 0x38b4, v73
	ds_load_u16 v11, v11
	v_fma_f16 v23, -0.5, v23, v21
	v_fma_f16 v75, -0.5, v75, v21
	v_fmac_f16_e32 v91, 0xb8b4, v22
	v_fmac_f16_e32 v70, 0x34f2, v0
	;; [unrolled: 1-line block ×3, first 2 shown]
	v_add_f16_e32 v22, v68, v28
	v_fmac_f16_e32 v24, 0x34f2, v0
	v_add_f16_e32 v0, v21, v69
	s_wait_loadcnt 0x0
	v_lshrrev_b32_e32 v21, 16, v79
	v_lshrrev_b32_e32 v28, 16, v80
	v_add_f16_e32 v30, v85, v30
	v_sub_f16_e32 v76, v67, v84
	v_sub_f16_e32 v85, v68, v88
	;; [unrolled: 1-line block ×4, first 2 shown]
	v_add_f16_e32 v0, v0, v25
	v_lshrrev_b32_e32 v25, 16, v78
	v_mul_f16_e32 v67, v18, v21
	v_lshrrev_b32_e32 v68, 16, v81
	v_mul_f16_e32 v69, v19, v28
	v_fmac_f16_e32 v96, 0x34f2, v93
	v_add_f16_e32 v94, v94, v95
	v_fmac_f16_e32 v82, 0x34f2, v93
	v_sub_f16_e32 v93, v72, v62
	v_add_f16_e32 v0, v0, v72
	v_mul_f16_e32 v72, v9, v25
	v_fma_f16 v67, v79, v103, -v67
	v_mul_f16_e32 v73, v20, v68
	v_fma_f16 v69, v80, v65, -v69
	v_mul_f16_e32 v21, v103, v21
	v_mul_f16_e32 v28, v65, v28
	v_mul_f16_e32 v25, v64, v25
	v_mul_f16_e32 v65, v63, v68
	v_fmac_f16_e32 v97, 0x34f2, v94
	v_fmac_f16_e32 v89, 0x34f2, v94
	v_fmamk_f16 v94, v85, 0xbb9c, v75
	v_fmac_f16_e32 v75, 0x3b9c, v85
	v_add_f16_e32 v68, v67, v69
	v_fmac_f16_e32 v21, v18, v79
	v_fmac_f16_e32 v28, v19, v80
	;; [unrolled: 1-line block ×4, first 2 shown]
	v_fma_f16 v9, v78, v64, -v72
	v_fma_f16 v18, v81, v63, -v73
	v_fmamk_f16 v83, v76, 0x3b9c, v23
	v_fmac_f16_e32 v94, 0x38b4, v76
	v_fmac_f16_e32 v23, 0xbb9c, v76
	;; [unrolled: 1-line block ×3, first 2 shown]
	s_wait_dscnt 0x0
	v_fma_f16 v20, -0.5, v68, v11
	v_sub_f16_e32 v64, v9, v67
	v_sub_f16_e32 v68, v18, v69
	;; [unrolled: 1-line block ×4, first 2 shown]
	v_fmac_f16_e32 v83, 0x38b4, v85
	v_fmac_f16_e32 v23, 0xb8b4, v85
	v_add_f16_e32 v64, v64, v68
	v_add_f16_e32 v22, v88, v22
	;; [unrolled: 1-line block ×4, first 2 shown]
	v_fmac_f16_e32 v83, 0x34f2, v74
	v_fmac_f16_e32 v23, 0x34f2, v74
	v_sub_f16_e32 v74, v21, v28
	v_add_f16_e32 v62, v62, v0
	v_add_f16_e32 v0, v25, v65
	v_fma_f16 v76, -0.5, v76, v11
	v_sub_f16_e32 v87, v88, v84
	v_add_f16_e32 v22, v84, v22
	v_sub_f16_e32 v63, v25, v65
	v_sub_f16_e32 v78, v67, v9
	v_fma_f16 v81, -0.5, v0, v8
	v_sub_f16_e32 v0, v69, v18
	v_fmamk_f16 v84, v74, 0x3b9c, v76
	v_fmac_f16_e32 v76, 0xbb9c, v74
	v_add_f16_e32 v19, v21, v28
	v_sub_f16_e32 v72, v9, v18
	v_add_f16_e32 v0, v78, v0
	v_fmac_f16_e32 v84, 0xb8b4, v63
	v_fmac_f16_e32 v76, 0x38b4, v63
	v_fma_f16 v19, -0.5, v19, v8
	v_add_f16_e32 v8, v8, v25
	v_sub_f16_e32 v85, v21, v25
	v_fmac_f16_e32 v84, 0x34f2, v0
	v_fmac_f16_e32 v76, 0x34f2, v0
	v_add_f16_e32 v0, v9, v11
	v_mul_hi_u32 v9, 0x5397829d, v10
	v_add_nc_u32_e32 v11, 56, v10
	v_add_f16_e32 v8, v8, v21
	v_add_f16_e32 v86, v86, v87
	;; [unrolled: 1-line block ×4, first 2 shown]
	v_mul_hi_u32 v21, 0x5397829d, v11
	v_sub_f16_e32 v80, v67, v69
	v_lshrrev_b32_e32 v9, 7, v9
	v_add_f16_e32 v0, v69, v0
	v_fmamk_f16 v73, v63, 0xbb9c, v20
	v_fmamk_f16 v79, v72, 0x3b9c, v19
	v_fmac_f16_e32 v20, 0x3b9c, v63
	v_mul_u32_u24_e32 v9, 0x188, v9
	v_fmac_f16_e32 v19, 0xbb9c, v72
	v_fmac_f16_e32 v91, 0x34f2, v86
	;; [unrolled: 1-line block ×5, first 2 shown]
	v_sub_f16_e32 v86, v28, v65
	v_fmamk_f16 v87, v80, 0xbb9c, v81
	v_fmac_f16_e32 v81, 0x3b9c, v80
	v_add_f16_e32 v0, v18, v0
	v_sub_nc_u32_e32 v9, v10, v9
	v_lshrrev_b32_e32 v18, 7, v21
	v_add_f16_e32 v8, v8, v28
	v_fmac_f16_e32 v20, 0x38b4, v74
	v_fmac_f16_e32 v19, 0xb8b4, v80
	v_add_f16_e32 v78, v85, v86
	v_fmac_f16_e32 v81, 0xb8b4, v72
	v_fmac_f16_e32 v87, 0x38b4, v72
	v_lshlrev_b32_e32 v9, 2, v9
	v_mul_u32_u24_e32 v21, 0x188, v18
	v_add_co_u32 v25, vcc_lo, v2, v4
	v_fmac_f16_e32 v73, 0xb8b4, v74
	v_fmac_f16_e32 v79, 0x38b4, v80
	v_add_f16_e32 v8, v65, v8
	s_wait_alu 0xfffd
	v_add_co_ci_u32_e32 v28, vcc_lo, v3, v5, vcc_lo
	v_fmac_f16_e32 v20, 0x34f2, v64
	v_fmac_f16_e32 v19, 0x34f2, v68
	;; [unrolled: 1-line block ×4, first 2 shown]
	v_sub_nc_u32_e32 v4, v11, v21
	v_add_co_u32 v2, vcc_lo, v25, v9
	v_fmac_f16_e32 v73, 0x34f2, v64
	v_fmac_f16_e32 v79, 0x34f2, v68
	s_wait_alu 0xfffd
	v_add_co_ci_u32_e32 v3, vcc_lo, 0, v28, vcc_lo
	v_pack_b32_f16 v8, v8, v0
	v_pack_b32_f16 v9, v19, v20
	;; [unrolled: 1-line block ×3, first 2 shown]
	v_mad_u32_u24 v0, 0x7a8, v18, v4
	v_pack_b32_f16 v18, v87, v84
	v_pack_b32_f16 v19, v79, v73
	s_clause 0x4
	global_store_b32 v[2:3], v8, off
	global_store_b32 v[2:3], v9, off offset:1568
	global_store_b32 v[2:3], v11, off offset:3136
	;; [unrolled: 1-line block ×4, first 2 shown]
	v_add_nc_u32_e32 v11, 0x70, v10
	v_dual_mov_b32 v3, v1 :: v_dual_add_nc_u32 v2, 0x188, v0
	v_lshlrev_b64_e32 v[4:5], 2, v[0:1]
	v_dual_mov_b32 v9, v1 :: v_dual_add_nc_u32 v8, 0x310, v0
	s_delay_alu instid0(VALU_DEP_4) | instskip(NEXT) | instid1(VALU_DEP_4)
	v_mul_hi_u32 v20, 0x5397829d, v11
	v_lshlrev_b64_e32 v[2:3], 2, v[2:3]
	v_dual_mov_b32 v19, v1 :: v_dual_add_nc_u32 v18, 0x498, v0
	v_add_co_u32 v4, vcc_lo, v25, v4
	v_pack_b32_f16 v62, v62, v22
	v_lshlrev_b64_e32 v[8:9], 2, v[8:9]
	v_lshrrev_b32_e32 v22, 7, v20
	v_add_nc_u32_e32 v0, 0x620, v0
	s_wait_alu 0xfffd
	v_add_co_ci_u32_e32 v5, vcc_lo, v28, v5, vcc_lo
	v_add_co_u32 v2, vcc_lo, v25, v2
	v_lshlrev_b64_e32 v[18:19], 2, v[18:19]
	s_wait_alu 0xfffd
	v_add_co_ci_u32_e32 v3, vcc_lo, v28, v3, vcc_lo
	v_pack_b32_f16 v24, v23, v24
	v_mul_u32_u24_e32 v23, 0x188, v22
	v_add_co_u32 v8, vcc_lo, v25, v8
	v_lshlrev_b64_e32 v[20:21], 2, v[0:1]
	s_wait_alu 0xfffd
	v_add_co_ci_u32_e32 v9, vcc_lo, v28, v9, vcc_lo
	v_add_co_u32 v18, vcc_lo, v25, v18
	v_sub_nc_u32_e32 v0, v11, v23
	s_wait_alu 0xfffd
	v_add_co_ci_u32_e32 v19, vcc_lo, v28, v19, vcc_lo
	v_pack_b32_f16 v63, v75, v77
	v_add_co_u32 v20, vcc_lo, v25, v20
	v_pack_b32_f16 v11, v94, v91
	s_wait_alu 0xfffd
	v_add_co_ci_u32_e32 v21, vcc_lo, v28, v21, vcc_lo
	v_pack_b32_f16 v64, v83, v70
	v_mad_u32_u24 v0, 0x7a8, v22, v0
	s_clause 0x4
	global_store_b32 v[4:5], v62, off
	global_store_b32 v[2:3], v24, off
	;; [unrolled: 1-line block ×5, first 2 shown]
	v_mov_b32_e32 v3, v1
	v_add_nc_u32_e32 v11, 0xa8, v10
	v_dual_mov_b32 v9, v1 :: v_dual_add_nc_u32 v2, 0x188, v0
	v_lshlrev_b64_e32 v[22:23], 2, v[0:1]
	v_dual_mov_b32 v19, v1 :: v_dual_add_nc_u32 v8, 0x310, v0
	s_delay_alu instid0(VALU_DEP_4) | instskip(NEXT) | instid1(VALU_DEP_4)
	v_mul_hi_u32 v20, 0x5397829d, v11
	v_lshlrev_b64_e32 v[2:3], 2, v[2:3]
	v_add_nc_u32_e32 v18, 0x498, v0
	v_add_co_u32 v4, vcc_lo, v25, v22
	v_lshlrev_b64_e32 v[8:9], 2, v[8:9]
	v_add_nc_u32_e32 v0, 0x620, v0
	s_wait_alu 0xfffd
	v_add_co_ci_u32_e32 v5, vcc_lo, v28, v23, vcc_lo
	v_lshrrev_b32_e32 v22, 7, v20
	v_add_co_u32 v2, vcc_lo, v25, v2
	v_lshlrev_b64_e32 v[18:19], 2, v[18:19]
	s_wait_alu 0xfffd
	v_add_co_ci_u32_e32 v3, vcc_lo, v28, v3, vcc_lo
	v_mul_u32_u24_e32 v23, 0x188, v22
	v_add_co_u32 v8, vcc_lo, v25, v8
	v_lshlrev_b64_e32 v[20:21], 2, v[0:1]
	s_wait_alu 0xfffd
	v_add_co_ci_u32_e32 v9, vcc_lo, v28, v9, vcc_lo
	v_add_co_u32 v18, vcc_lo, v25, v18
	v_pack_b32_f16 v24, v26, v30
	v_sub_nc_u32_e32 v0, v11, v23
	v_pack_b32_f16 v26, v71, v29
	s_wait_alu 0xfffd
	v_add_co_ci_u32_e32 v19, vcc_lo, v28, v19, vcc_lo
	v_pack_b32_f16 v29, v89, v82
	v_add_co_u32 v20, vcc_lo, v25, v20
	v_pack_b32_f16 v11, v97, v96
	s_wait_alu 0xfffd
	v_add_co_ci_u32_e32 v21, vcc_lo, v28, v21, vcc_lo
	v_pack_b32_f16 v30, v90, v66
	v_mad_u32_u24 v0, 0x7a8, v22, v0
	s_clause 0x4
	global_store_b32 v[4:5], v24, off
	global_store_b32 v[2:3], v26, off
	;; [unrolled: 1-line block ×5, first 2 shown]
	v_mov_b32_e32 v9, v1
	v_add_nc_u32_e32 v11, 0xe0, v10
	v_sub_f16_e64 v133, v115, v118
	v_fma_f16 v56, -0.5, v132, v100
	v_sub_f16_e64 v134, v116, v117
	v_add_f16_e32 v61, v109, v111
	v_fma_f16 v54, -0.5, v142, v100
	v_dual_mov_b32 v19, v1 :: v_dual_add_nc_u32 v2, 0x188, v0
	v_mov_b32_e32 v3, v1
	v_mul_hi_u32 v20, 0x5397829d, v11
	v_lshlrev_b64_e32 v[22:23], 2, v[0:1]
	v_add_nc_u32_e32 v8, 0x310, v0
	v_sub_f16_e64 v135, v115, v116
	v_sub_f16_e64 v136, v118, v117
	v_add_f16_e32 v33, v59, v60
	v_fma_f16 v58, 0xbb9c, v133, v56
	v_fma_f16 v59, 0x3b9c, v138, v57
	v_fmac_f16_e64 v56, 0x3b9c, v133
	v_fmac_f16_e64 v57, 0xbb9c, v138
	v_sub_f16_e32 v106, v110, v112
	v_sub_f16_e32 v123, v112, v110
	v_sub_f16_e64 v143, v116, v115
	v_sub_f16_e64 v144, v117, v118
	v_add_f16_e32 v112, v61, v112
	v_fma_f16 v60, 0x3b9c, v134, v54
	v_fma_f16 v61, 0xbb9c, v139, v55
	v_fmac_f16_e64 v54, 0xbb9c, v134
	v_fmac_f16_e64 v55, 0x3b9c, v139
	v_lshlrev_b64_e32 v[2:3], 2, v[2:3]
	v_add_nc_u32_e32 v18, 0x498, v0
	v_add_co_u32 v4, vcc_lo, v25, v22
	v_lshrrev_b32_e32 v22, 7, v20
	v_lshlrev_b64_e32 v[8:9], 2, v[8:9]
	v_add_f16_e64 v107, v128, v129
	v_add_f16_e64 v109, v135, v136
	v_fmac_f16_e64 v56, 0x38b4, v134
	v_fmac_f16_e64 v57, 0xb8b4, v139
	v_add_nc_u32_e32 v0, 0x620, v0
	v_add_f16_e32 v105, v105, v106
	v_add_f16_e32 v106, v114, v119
	v_add_f16_e64 v111, v140, v141
	v_add_f16_e64 v114, v143, v144
	v_fmac_f16_e64 v54, 0x38b4, v133
	v_fmac_f16_e64 v55, 0xb8b4, v138
	s_wait_alu 0xfffd
	v_add_co_ci_u32_e32 v5, vcc_lo, v28, v23, vcc_lo
	v_fmac_f16_e64 v60, 0xb8b4, v133
	v_fmac_f16_e64 v61, 0x38b4, v138
	v_add_co_u32 v2, vcc_lo, v25, v2
	v_lshlrev_b64_e32 v[18:19], 2, v[18:19]
	v_fmac_f16_e64 v58, 0xb8b4, v134
	v_fmac_f16_e64 v59, 0x38b4, v139
	s_wait_alu 0xfffd
	v_add_co_ci_u32_e32 v3, vcc_lo, v28, v3, vcc_lo
	v_mul_u32_u24_e32 v23, 0x188, v22
	v_fmac_f16_e32 v56, 0x34f2, v107
	v_fmac_f16_e32 v57, 0x34f2, v109
	v_add_co_u32 v8, vcc_lo, v25, v8
	v_lshlrev_b64_e32 v[20:21], 2, v[0:1]
	v_fmac_f16_e32 v54, 0x34f2, v111
	v_fmac_f16_e32 v55, 0x34f2, v114
	;; [unrolled: 1-line block ×4, first 2 shown]
	s_wait_alu 0xfffd
	v_add_co_ci_u32_e32 v9, vcc_lo, v28, v9, vcc_lo
	v_fmac_f16_e32 v58, 0x34f2, v107
	v_fmac_f16_e32 v59, 0x34f2, v109
	v_add_co_u32 v18, vcc_lo, v25, v18
	v_pack_b32_f16 v24, v27, v31
	v_sub_nc_u32_e32 v0, v11, v23
	v_pack_b32_f16 v26, v57, v56
	s_wait_alu 0xfffd
	v_add_co_ci_u32_e32 v19, vcc_lo, v28, v19, vcc_lo
	v_pack_b32_f16 v27, v55, v54
	v_add_co_u32 v20, vcc_lo, v25, v20
	v_pack_b32_f16 v11, v61, v60
	s_wait_alu 0xfffd
	v_add_co_ci_u32_e32 v21, vcc_lo, v28, v21, vcc_lo
	v_pack_b32_f16 v29, v59, v58
	v_mad_u32_u24 v0, 0x7a8, v22, v0
	s_clause 0x4
	global_store_b32 v[4:5], v24, off
	global_store_b32 v[2:3], v26, off
	;; [unrolled: 1-line block ×5, first 2 shown]
	v_mov_b32_e32 v19, v1
	v_add_nc_u32_e32 v11, 0x118, v10
	v_dual_mov_b32 v3, v1 :: v_dual_add_nc_u32 v2, 0x188, v0
	v_lshlrev_b64_e32 v[22:23], 2, v[0:1]
	v_fmamk_f16 v14, v125, 0xbb9c, v12
	s_delay_alu instid0(VALU_DEP_4)
	v_mul_hi_u32 v20, 0x5397829d, v11
	v_fmac_f16_e32 v12, 0x3b9c, v125
	v_dual_mov_b32 v9, v1 :: v_dual_add_nc_u32 v8, 0x310, v0
	v_fmamk_f16 v47, v108, 0x3b9c, v45
	v_fmac_f16_e32 v45, 0xbb9c, v108
	v_fmamk_f16 v49, v113, 0xbb9c, v43
	v_fmac_f16_e32 v43, 0x3b9c, v113
	v_lshlrev_b64_e32 v[2:3], 2, v[2:3]
	v_add_nc_u32_e32 v18, 0x498, v0
	v_fmac_f16_e32 v14, 0xb8b4, v126
	v_fmac_f16_e32 v12, 0x38b4, v126
	v_add_co_u32 v4, vcc_lo, v25, v22
	v_lshrrev_b32_e32 v22, 7, v20
	v_lshlrev_b64_e32 v[8:9], 2, v[8:9]
	v_fmac_f16_e32 v44, 0x38b4, v104
	v_fmac_f16_e32 v45, 0xb8b4, v113
	v_add_nc_u32_e32 v0, 0x620, v0
	v_add_f16_e32 v99, v122, v123
	v_fmac_f16_e32 v43, 0xb8b4, v108
	s_wait_alu 0xfffd
	v_add_co_ci_u32_e32 v5, vcc_lo, v28, v23, vcc_lo
	v_fmac_f16_e32 v49, 0x38b4, v108
	v_add_co_u32 v2, vcc_lo, v25, v2
	v_lshlrev_b64_e32 v[18:19], 2, v[18:19]
	v_fmac_f16_e32 v46, 0xb8b4, v104
	v_fmac_f16_e32 v47, 0x38b4, v113
	;; [unrolled: 1-line block ×4, first 2 shown]
	v_add_f16_e32 v53, v110, v112
	s_wait_alu 0xfffd
	v_add_co_ci_u32_e32 v3, vcc_lo, v28, v3, vcc_lo
	v_mul_u32_u24_e32 v23, 0x188, v22
	v_fmac_f16_e64 v44, 0x34f2, v149
	v_fmac_f16_e32 v45, 0x34f2, v105
	v_add_co_u32 v8, vcc_lo, v25, v8
	v_lshlrev_b64_e32 v[20:21], 2, v[0:1]
	v_fmac_f16_e32 v42, 0x34f2, v106
	v_fmac_f16_e32 v43, 0x34f2, v99
	;; [unrolled: 1-line block ×4, first 2 shown]
	s_wait_alu 0xfffd
	v_add_co_ci_u32_e32 v9, vcc_lo, v28, v9, vcc_lo
	v_fmac_f16_e64 v46, 0x34f2, v149
	v_fmac_f16_e32 v47, 0x34f2, v105
	v_add_co_u32 v18, vcc_lo, v25, v18
	v_pack_b32_f16 v24, v53, v52
	v_sub_nc_u32_e32 v0, v11, v23
	v_pack_b32_f16 v26, v45, v44
	s_wait_alu 0xfffd
	v_add_co_ci_u32_e32 v19, vcc_lo, v28, v19, vcc_lo
	v_pack_b32_f16 v27, v43, v42
	v_add_co_u32 v20, vcc_lo, v25, v20
	v_pack_b32_f16 v11, v49, v48
	s_wait_alu 0xfffd
	v_add_co_ci_u32_e32 v21, vcc_lo, v28, v21, vcc_lo
	v_pack_b32_f16 v29, v47, v46
	v_mad_u32_u24 v0, 0x7a8, v22, v0
	s_clause 0x4
	global_store_b32 v[4:5], v24, off
	global_store_b32 v[2:3], v26, off
	;; [unrolled: 1-line block ×5, first 2 shown]
	v_add_nc_u32_e32 v21, 0x150, v10
	v_mov_b32_e32 v3, v1
	v_mov_b32_e32 v9, v1
	v_lshlrev_b64_e32 v[22:23], 2, v[0:1]
	v_add_nc_u32_e32 v2, 0x188, v0
	v_mul_hi_u32 v18, 0x5397829d, v21
	v_add_nc_u32_e32 v8, 0x310, v0
	v_add_nc_u32_e32 v10, 0x498, v0
	;; [unrolled: 1-line block ×3, first 2 shown]
	v_add_co_u32 v4, vcc_lo, v25, v22
	s_wait_alu 0xfffd
	v_add_co_ci_u32_e32 v5, vcc_lo, v28, v23, vcc_lo
	v_lshrrev_b32_e32 v23, 7, v18
	v_lshlrev_b64_e32 v[2:3], 2, v[2:3]
	v_mov_b32_e32 v11, v1
	v_lshlrev_b64_e32 v[8:9], 2, v[8:9]
	v_lshlrev_b64_e32 v[18:19], 2, v[0:1]
	v_mul_u32_u24_e32 v0, 0x188, v23
	v_fmac_f16_e64 v36, 0x34f2, v146
	v_add_co_u32 v2, vcc_lo, v25, v2
	v_lshlrev_b64_e32 v[10:11], 2, v[10:11]
	s_wait_alu 0xfffd
	v_add_co_ci_u32_e32 v3, vcc_lo, v28, v3, vcc_lo
	v_sub_nc_u32_e32 v0, v21, v0
	v_fmac_f16_e64 v37, 0x34f2, v147
	v_add_co_u32 v8, vcc_lo, v25, v8
	v_fmac_f16_e64 v34, 0x34f2, v148
	v_fmac_f16_e32 v35, 0x34f2, v98
	v_fmac_f16_e64 v40, 0x34f2, v148
	v_fmac_f16_e32 v41, 0x34f2, v98
	s_wait_alu 0xfffd
	v_add_co_ci_u32_e32 v9, vcc_lo, v28, v9, vcc_lo
	v_fmac_f16_e64 v38, 0x34f2, v146
	v_fmac_f16_e64 v39, 0x34f2, v147
	v_add_co_u32 v10, vcc_lo, v25, v10
	v_pack_b32_f16 v20, v51, v50
	v_mad_u32_u24 v0, 0x7a8, v23, v0
	v_pack_b32_f16 v22, v37, v36
	s_wait_alu 0xfffd
	v_add_co_ci_u32_e32 v11, vcc_lo, v28, v11, vcc_lo
	v_pack_b32_f16 v24, v35, v34
	v_add_co_u32 v18, vcc_lo, v25, v18
	v_pack_b32_f16 v26, v41, v40
	s_wait_alu 0xfffd
	v_add_co_ci_u32_e32 v19, vcc_lo, v28, v19, vcc_lo
	v_pack_b32_f16 v21, v39, v38
	s_clause 0x4
	global_store_b32 v[4:5], v20, off
	global_store_b32 v[2:3], v22, off
	;; [unrolled: 1-line block ×5, first 2 shown]
	v_dual_mov_b32 v11, v1 :: v_dual_add_nc_u32 v4, 0x188, v0
	v_mov_b32_e32 v5, v1
	v_lshlrev_b64_e32 v[2:3], 2, v[0:1]
	v_dual_mov_b32 v9, v1 :: v_dual_add_nc_u32 v8, 0x310, v0
	v_add_nc_u32_e32 v10, 0x498, v0
	s_delay_alu instid0(VALU_DEP_4)
	v_lshlrev_b64_e32 v[4:5], 2, v[4:5]
	v_add_nc_u32_e32 v0, 0x620, v0
	v_add_co_u32 v2, vcc_lo, v25, v2
	v_lshlrev_b64_e32 v[8:9], 2, v[8:9]
	s_wait_alu 0xfffd
	v_add_co_ci_u32_e32 v3, vcc_lo, v28, v3, vcc_lo
	v_add_co_u32 v4, vcc_lo, v25, v4
	v_lshlrev_b64_e32 v[10:11], 2, v[10:11]
	s_wait_alu 0xfffd
	v_add_co_ci_u32_e32 v5, vcc_lo, v28, v5, vcc_lo
	v_add_co_u32 v8, vcc_lo, v25, v8
	v_lshlrev_b64_e32 v[0:1], 2, v[0:1]
	s_wait_alu 0xfffd
	v_add_co_ci_u32_e32 v9, vcc_lo, v28, v9, vcc_lo
	v_pack_b32_f16 v12, v13, v12
	v_pack_b32_f16 v13, v7, v6
	v_add_co_u32 v6, vcc_lo, v25, v10
	v_pack_b32_f16 v18, v33, v32
	s_wait_alu 0xfffd
	v_add_co_ci_u32_e32 v7, vcc_lo, v28, v11, vcc_lo
	v_add_co_u32 v0, vcc_lo, v25, v0
	v_pack_b32_f16 v10, v17, v16
	s_wait_alu 0xfffd
	v_add_co_ci_u32_e32 v1, vcc_lo, v28, v1, vcc_lo
	v_pack_b32_f16 v11, v15, v14
	s_clause 0x4
	global_store_b32 v[2:3], v18, off
	global_store_b32 v[4:5], v12, off
	;; [unrolled: 1-line block ×5, first 2 shown]
.LBB0_29:
	s_nop 0
	s_sendmsg sendmsg(MSG_DEALLOC_VGPRS)
	s_endpgm
	.section	.rodata,"a",@progbits
	.p2align	6, 0x0
	.amdhsa_kernel fft_rtc_back_len1960_factors_4_7_2_7_5_wgs_56_tpt_56_halfLds_half_op_CI_CI_unitstride_sbrr_dirReg
		.amdhsa_group_segment_fixed_size 0
		.amdhsa_private_segment_fixed_size 0
		.amdhsa_kernarg_size 104
		.amdhsa_user_sgpr_count 2
		.amdhsa_user_sgpr_dispatch_ptr 0
		.amdhsa_user_sgpr_queue_ptr 0
		.amdhsa_user_sgpr_kernarg_segment_ptr 1
		.amdhsa_user_sgpr_dispatch_id 0
		.amdhsa_user_sgpr_private_segment_size 0
		.amdhsa_wavefront_size32 1
		.amdhsa_uses_dynamic_stack 0
		.amdhsa_enable_private_segment 0
		.amdhsa_system_sgpr_workgroup_id_x 1
		.amdhsa_system_sgpr_workgroup_id_y 0
		.amdhsa_system_sgpr_workgroup_id_z 0
		.amdhsa_system_sgpr_workgroup_info 0
		.amdhsa_system_vgpr_workitem_id 0
		.amdhsa_next_free_vgpr 157
		.amdhsa_next_free_sgpr 39
		.amdhsa_reserve_vcc 1
		.amdhsa_float_round_mode_32 0
		.amdhsa_float_round_mode_16_64 0
		.amdhsa_float_denorm_mode_32 3
		.amdhsa_float_denorm_mode_16_64 3
		.amdhsa_fp16_overflow 0
		.amdhsa_workgroup_processor_mode 1
		.amdhsa_memory_ordered 1
		.amdhsa_forward_progress 0
		.amdhsa_round_robin_scheduling 0
		.amdhsa_exception_fp_ieee_invalid_op 0
		.amdhsa_exception_fp_denorm_src 0
		.amdhsa_exception_fp_ieee_div_zero 0
		.amdhsa_exception_fp_ieee_overflow 0
		.amdhsa_exception_fp_ieee_underflow 0
		.amdhsa_exception_fp_ieee_inexact 0
		.amdhsa_exception_int_div_zero 0
	.end_amdhsa_kernel
	.text
.Lfunc_end0:
	.size	fft_rtc_back_len1960_factors_4_7_2_7_5_wgs_56_tpt_56_halfLds_half_op_CI_CI_unitstride_sbrr_dirReg, .Lfunc_end0-fft_rtc_back_len1960_factors_4_7_2_7_5_wgs_56_tpt_56_halfLds_half_op_CI_CI_unitstride_sbrr_dirReg
                                        ; -- End function
	.section	.AMDGPU.csdata,"",@progbits
; Kernel info:
; codeLenInByte = 23772
; NumSgprs: 41
; NumVgprs: 157
; ScratchSize: 0
; MemoryBound: 0
; FloatMode: 240
; IeeeMode: 1
; LDSByteSize: 0 bytes/workgroup (compile time only)
; SGPRBlocks: 5
; VGPRBlocks: 19
; NumSGPRsForWavesPerEU: 41
; NumVGPRsForWavesPerEU: 157
; Occupancy: 9
; WaveLimiterHint : 1
; COMPUTE_PGM_RSRC2:SCRATCH_EN: 0
; COMPUTE_PGM_RSRC2:USER_SGPR: 2
; COMPUTE_PGM_RSRC2:TRAP_HANDLER: 0
; COMPUTE_PGM_RSRC2:TGID_X_EN: 1
; COMPUTE_PGM_RSRC2:TGID_Y_EN: 0
; COMPUTE_PGM_RSRC2:TGID_Z_EN: 0
; COMPUTE_PGM_RSRC2:TIDIG_COMP_CNT: 0
	.text
	.p2alignl 7, 3214868480
	.fill 96, 4, 3214868480
	.type	__hip_cuid_b064cc815fb683b0,@object ; @__hip_cuid_b064cc815fb683b0
	.section	.bss,"aw",@nobits
	.globl	__hip_cuid_b064cc815fb683b0
__hip_cuid_b064cc815fb683b0:
	.byte	0                               ; 0x0
	.size	__hip_cuid_b064cc815fb683b0, 1

	.ident	"AMD clang version 19.0.0git (https://github.com/RadeonOpenCompute/llvm-project roc-6.4.0 25133 c7fe45cf4b819c5991fe208aaa96edf142730f1d)"
	.section	".note.GNU-stack","",@progbits
	.addrsig
	.addrsig_sym __hip_cuid_b064cc815fb683b0
	.amdgpu_metadata
---
amdhsa.kernels:
  - .args:
      - .actual_access:  read_only
        .address_space:  global
        .offset:         0
        .size:           8
        .value_kind:     global_buffer
      - .offset:         8
        .size:           8
        .value_kind:     by_value
      - .actual_access:  read_only
        .address_space:  global
        .offset:         16
        .size:           8
        .value_kind:     global_buffer
      - .actual_access:  read_only
        .address_space:  global
        .offset:         24
        .size:           8
        .value_kind:     global_buffer
      - .actual_access:  read_only
        .address_space:  global
        .offset:         32
        .size:           8
        .value_kind:     global_buffer
      - .offset:         40
        .size:           8
        .value_kind:     by_value
      - .actual_access:  read_only
        .address_space:  global
        .offset:         48
        .size:           8
        .value_kind:     global_buffer
      - .actual_access:  read_only
        .address_space:  global
        .offset:         56
        .size:           8
        .value_kind:     global_buffer
      - .offset:         64
        .size:           4
        .value_kind:     by_value
      - .actual_access:  read_only
        .address_space:  global
        .offset:         72
        .size:           8
        .value_kind:     global_buffer
      - .actual_access:  read_only
        .address_space:  global
        .offset:         80
        .size:           8
        .value_kind:     global_buffer
      - .actual_access:  read_only
        .address_space:  global
        .offset:         88
        .size:           8
        .value_kind:     global_buffer
      - .actual_access:  write_only
        .address_space:  global
        .offset:         96
        .size:           8
        .value_kind:     global_buffer
    .group_segment_fixed_size: 0
    .kernarg_segment_align: 8
    .kernarg_segment_size: 104
    .language:       OpenCL C
    .language_version:
      - 2
      - 0
    .max_flat_workgroup_size: 56
    .name:           fft_rtc_back_len1960_factors_4_7_2_7_5_wgs_56_tpt_56_halfLds_half_op_CI_CI_unitstride_sbrr_dirReg
    .private_segment_fixed_size: 0
    .sgpr_count:     41
    .sgpr_spill_count: 0
    .symbol:         fft_rtc_back_len1960_factors_4_7_2_7_5_wgs_56_tpt_56_halfLds_half_op_CI_CI_unitstride_sbrr_dirReg.kd
    .uniform_work_group_size: 1
    .uses_dynamic_stack: false
    .vgpr_count:     157
    .vgpr_spill_count: 0
    .wavefront_size: 32
    .workgroup_processor_mode: 1
amdhsa.target:   amdgcn-amd-amdhsa--gfx1201
amdhsa.version:
  - 1
  - 2
...

	.end_amdgpu_metadata
